;; amdgpu-corpus repo=ROCm/rocSPARSE kind=compiled arch=gfx1250 opt=O3
	.amdgcn_target "amdgcn-amd-amdhsa--gfx1250"
	.amdhsa_code_object_version 6
	.section	.text._ZN9rocsparseL19csrcolor_kernel_jplILj256EiiEEvT1_S1_PKT0_PKS1_21rocsparse_index_base_PS1_,"axG",@progbits,_ZN9rocsparseL19csrcolor_kernel_jplILj256EiiEEvT1_S1_PKT0_PKS1_21rocsparse_index_base_PS1_,comdat
	.globl	_ZN9rocsparseL19csrcolor_kernel_jplILj256EiiEEvT1_S1_PKT0_PKS1_21rocsparse_index_base_PS1_ ; -- Begin function _ZN9rocsparseL19csrcolor_kernel_jplILj256EiiEEvT1_S1_PKT0_PKS1_21rocsparse_index_base_PS1_
	.p2align	8
	.type	_ZN9rocsparseL19csrcolor_kernel_jplILj256EiiEEvT1_S1_PKT0_PKS1_21rocsparse_index_base_PS1_,@function
_ZN9rocsparseL19csrcolor_kernel_jplILj256EiiEEvT1_S1_PKT0_PKS1_21rocsparse_index_base_PS1_: ; @_ZN9rocsparseL19csrcolor_kernel_jplILj256EiiEEvT1_S1_PKT0_PKS1_21rocsparse_index_base_PS1_
; %bb.0:
	s_clause 0x1
	s_load_b32 s4, s[0:1], 0x34
	s_load_b64 s[2:3], s[0:1], 0x0
	s_bfe_u32 s5, ttmp6, 0x4000c
	s_and_b32 s6, ttmp6, 15
	s_add_co_i32 s5, s5, 1
	s_getreg_b32 s7, hwreg(HW_REG_IB_STS2, 6, 4)
	s_mul_i32 s5, ttmp9, s5
	s_delay_alu instid0(SALU_CYCLE_1) | instskip(SKIP_4) | instid1(SALU_CYCLE_1)
	s_add_co_i32 s6, s6, s5
	s_wait_kmcnt 0x0
	s_and_b32 s4, s4, 0xffff
	s_cmp_eq_u32 s7, 0
	s_cselect_b32 s5, ttmp9, s6
	v_mad_u32 v0, s5, s4, v0
	s_delay_alu instid0(VALU_DEP_1)
	v_cmp_gt_i32_e32 vcc_lo, s2, v0
	s_and_saveexec_b32 s2, vcc_lo
	s_cbranch_execz .LBB0_12
; %bb.1:
	s_load_b64 s[4:5], s[0:1], 0x20
	s_mov_b32 s2, -1
	s_wait_kmcnt 0x0
	global_load_b32 v1, v0, s[4:5] scale_offset
	s_wait_loadcnt 0x0
	v_cmp_eq_u32_e32 vcc_lo, -1, v1
	s_and_b32 exec_lo, exec_lo, vcc_lo
	s_cbranch_execz .LBB0_12
; %bb.2:
	s_load_b64 s[6:7], s[0:1], 0x8
	v_ashrrev_i32_e32 v1, 31, v0
	s_wait_kmcnt 0x0
	s_delay_alu instid0(VALU_DEP_1)
	v_lshl_add_u64 v[2:3], v[0:1], 2, s[6:7]
	s_mov_b32 s6, exec_lo
	global_load_b64 v[4:5], v[2:3], off
	s_wait_xcnt 0x0
	v_mov_b32_e32 v2, s3
	s_wait_loadcnt 0x0
	v_cmpx_lt_i32_e64 v4, v5
	s_cbranch_execz .LBB0_10
; %bb.3:
	v_lshrrev_b32_e32 v2, 16, v0
	s_load_b96 s[0:2], s[0:1], 0x10
	s_add_co_i32 s7, s3, 1
	s_mov_b32 s12, -1
	s_mov_b32 s8, 0
	v_xor_b32_e32 v2, v2, v0
	s_mov_b32 s14, -1
                                        ; implicit-def: $sgpr10
                                        ; implicit-def: $sgpr13
                                        ; implicit-def: $sgpr9
                                        ; implicit-def: $sgpr11
	s_delay_alu instid0(VALU_DEP_1) | instskip(SKIP_2) | instid1(VALU_DEP_2)
	v_mul_lo_u32 v2, 0x85ebca6b, v2
	s_wait_kmcnt 0x0
	v_subrev_nc_u32_e32 v6, s2, v5
	v_lshrrev_b32_e32 v3, 13, v2
	s_delay_alu instid0(VALU_DEP_1) | instskip(NEXT) | instid1(VALU_DEP_1)
	v_xor_b32_e32 v2, v3, v2
	v_mul_lo_u32 v7, 0xc2b2ae35, v2
	v_subrev_nc_u32_e32 v2, s2, v4
	s_delay_alu instid0(VALU_DEP_1) | instskip(NEXT) | instid1(VALU_DEP_1)
	v_dual_ashrrev_i32 v3, 31, v2 :: v_dual_lshrrev_b32 v4, 16, v7
	v_xor_b32_e32 v7, v4, v7
	s_delay_alu instid0(VALU_DEP_2)
	v_lshl_add_u64 v[4:5], v[2:3], 2, s[0:1]
	s_branch .LBB0_6
.LBB0_4:                                ;   in Loop: Header=BB0_6 Depth=1
	s_or_b32 exec_lo, exec_lo, s1
	s_delay_alu instid0(SALU_CYCLE_1)
	s_and_not1_b32 s0, s13, exec_lo
	s_and_b32 s1, s12, exec_lo
	s_and_not1_b32 s10, s10, exec_lo
	s_and_b32 s12, s14, exec_lo
	s_or_b32 s13, s0, s1
	s_or_b32 s10, s10, s12
                                        ; implicit-def: $sgpr12
                                        ; implicit-def: $sgpr14
.LBB0_5:                                ;   in Loop: Header=BB0_6 Depth=1
	s_or_b32 exec_lo, exec_lo, s15
	v_add_nc_u32_e32 v2, 1, v2
	v_add_nc_u64_e32 v[4:5], 4, v[4:5]
	s_delay_alu instid0(VALU_DEP_2)
	v_cmp_ge_i32_e32 vcc_lo, v2, v6
	s_or_b32 s8, vcc_lo, s8
	s_and_not1_b32 s0, s11, exec_lo
	s_and_b32 s1, s13, exec_lo
	s_and_not1_b32 s9, s9, exec_lo
	s_and_b32 s15, s10, exec_lo
	s_and_not1_b32 s14, s14, exec_lo
	s_and_not1_b32 s12, s12, exec_lo
	s_or_b32 s11, s0, s1
	s_or_b32 s9, s9, s15
	;; [unrolled: 1-line block ×4, first 2 shown]
	s_and_not1_b32 exec_lo, exec_lo, s8
	s_cbranch_execz .LBB0_9
.LBB0_6:                                ; =>This Inner Loop Header: Depth=1
	global_load_b32 v3, v[4:5], off
	s_and_not1_b32 s0, s13, exec_lo
	s_and_b32 s1, s12, exec_lo
	s_and_not1_b32 s10, s10, exec_lo
	s_and_b32 s15, s14, exec_lo
	s_or_b32 s13, s0, s1
	s_or_b32 s10, s10, s15
	s_mov_b32 s15, exec_lo
	s_wait_loadcnt 0x0
	v_subrev_nc_u32_e32 v3, s2, v3
	s_delay_alu instid0(VALU_DEP_1)
	v_cmpx_ne_u32_e64 v0, v3
	s_cbranch_execz .LBB0_5
; %bb.7:                                ;   in Loop: Header=BB0_6 Depth=1
	global_load_b32 v8, v3, s[4:5] scale_offset
	s_wait_loadcnt 0x0
	v_cmp_eq_u32_e32 vcc_lo, -1, v8
	v_cmp_eq_u32_e64 s0, s3, v8
	v_cmp_eq_u32_e64 s1, s7, v8
	s_or_b32 s0, vcc_lo, s0
	s_delay_alu instid0(SALU_CYCLE_1) | instskip(NEXT) | instid1(SALU_CYCLE_1)
	s_or_b32 s0, s0, s1
	s_and_saveexec_b32 s1, s0
	s_cbranch_execz .LBB0_4
; %bb.8:                                ;   in Loop: Header=BB0_6 Depth=1
	v_lshrrev_b32_e32 v8, 16, v3
	s_and_not1_b32 s16, s14, exec_lo
	s_and_not1_b32 s17, s12, exec_lo
	s_delay_alu instid0(VALU_DEP_1) | instskip(NEXT) | instid1(VALU_DEP_1)
	v_xor_b32_e32 v3, v8, v3
	v_mul_lo_u32 v3, 0x85ebca6b, v3
	s_delay_alu instid0(VALU_DEP_1) | instskip(NEXT) | instid1(VALU_DEP_1)
	v_lshrrev_b32_e32 v8, 13, v3
	v_xor_b32_e32 v3, v8, v3
	s_delay_alu instid0(VALU_DEP_1) | instskip(NEXT) | instid1(VALU_DEP_1)
	v_mul_lo_u32 v3, 0xc2b2ae35, v3
	v_lshrrev_b32_e32 v8, 16, v3
	s_delay_alu instid0(VALU_DEP_1) | instskip(NEXT) | instid1(VALU_DEP_1)
	v_xor_b32_e32 v3, v8, v3
	v_cmp_lt_u32_e32 vcc_lo, v7, v3
	v_cmp_gt_u32_e64 s0, v7, v3
	s_and_b32 s14, vcc_lo, s14
	s_and_b32 s0, s0, s12
	s_and_b32 s12, s14, exec_lo
	s_and_b32 s0, s0, exec_lo
	s_or_b32 s14, s16, s12
	s_or_b32 s12, s17, s0
	s_branch .LBB0_4
.LBB0_9:
	s_or_b32 exec_lo, exec_lo, s8
	v_mov_b32_e32 v2, s3
	s_or_b32 s0, s11, s9
	s_delay_alu instid0(SALU_CYCLE_1) | instskip(NEXT) | instid1(VALU_DEP_1)
	s_or_not1_b32 s2, s0, exec_lo
	v_cndmask_b32_e64 v2, s7, v2, s11
.LBB0_10:
	s_or_b32 exec_lo, exec_lo, s6
	s_delay_alu instid0(SALU_CYCLE_1)
	s_and_b32 exec_lo, exec_lo, s2
	s_cbranch_execz .LBB0_12
; %bb.11:
	v_lshl_add_u64 v[0:1], v[0:1], 2, s[4:5]
	global_store_b32 v[0:1], v2, off
.LBB0_12:
	s_endpgm
	.section	.rodata,"a",@progbits
	.p2align	6, 0x0
	.amdhsa_kernel _ZN9rocsparseL19csrcolor_kernel_jplILj256EiiEEvT1_S1_PKT0_PKS1_21rocsparse_index_base_PS1_
		.amdhsa_group_segment_fixed_size 0
		.amdhsa_private_segment_fixed_size 0
		.amdhsa_kernarg_size 296
		.amdhsa_user_sgpr_count 2
		.amdhsa_user_sgpr_dispatch_ptr 0
		.amdhsa_user_sgpr_queue_ptr 0
		.amdhsa_user_sgpr_kernarg_segment_ptr 1
		.amdhsa_user_sgpr_dispatch_id 0
		.amdhsa_user_sgpr_kernarg_preload_length 0
		.amdhsa_user_sgpr_kernarg_preload_offset 0
		.amdhsa_user_sgpr_private_segment_size 0
		.amdhsa_wavefront_size32 1
		.amdhsa_uses_dynamic_stack 0
		.amdhsa_enable_private_segment 0
		.amdhsa_system_sgpr_workgroup_id_x 1
		.amdhsa_system_sgpr_workgroup_id_y 0
		.amdhsa_system_sgpr_workgroup_id_z 0
		.amdhsa_system_sgpr_workgroup_info 0
		.amdhsa_system_vgpr_workitem_id 0
		.amdhsa_next_free_vgpr 9
		.amdhsa_next_free_sgpr 18
		.amdhsa_named_barrier_count 0
		.amdhsa_reserve_vcc 1
		.amdhsa_float_round_mode_32 0
		.amdhsa_float_round_mode_16_64 0
		.amdhsa_float_denorm_mode_32 3
		.amdhsa_float_denorm_mode_16_64 3
		.amdhsa_fp16_overflow 0
		.amdhsa_memory_ordered 1
		.amdhsa_forward_progress 1
		.amdhsa_inst_pref_size 6
		.amdhsa_round_robin_scheduling 0
		.amdhsa_exception_fp_ieee_invalid_op 0
		.amdhsa_exception_fp_denorm_src 0
		.amdhsa_exception_fp_ieee_div_zero 0
		.amdhsa_exception_fp_ieee_overflow 0
		.amdhsa_exception_fp_ieee_underflow 0
		.amdhsa_exception_fp_ieee_inexact 0
		.amdhsa_exception_int_div_zero 0
	.end_amdhsa_kernel
	.section	.text._ZN9rocsparseL19csrcolor_kernel_jplILj256EiiEEvT1_S1_PKT0_PKS1_21rocsparse_index_base_PS1_,"axG",@progbits,_ZN9rocsparseL19csrcolor_kernel_jplILj256EiiEEvT1_S1_PKT0_PKS1_21rocsparse_index_base_PS1_,comdat
.Lfunc_end0:
	.size	_ZN9rocsparseL19csrcolor_kernel_jplILj256EiiEEvT1_S1_PKT0_PKS1_21rocsparse_index_base_PS1_, .Lfunc_end0-_ZN9rocsparseL19csrcolor_kernel_jplILj256EiiEEvT1_S1_PKT0_PKS1_21rocsparse_index_base_PS1_
                                        ; -- End function
	.set _ZN9rocsparseL19csrcolor_kernel_jplILj256EiiEEvT1_S1_PKT0_PKS1_21rocsparse_index_base_PS1_.num_vgpr, 9
	.set _ZN9rocsparseL19csrcolor_kernel_jplILj256EiiEEvT1_S1_PKT0_PKS1_21rocsparse_index_base_PS1_.num_agpr, 0
	.set _ZN9rocsparseL19csrcolor_kernel_jplILj256EiiEEvT1_S1_PKT0_PKS1_21rocsparse_index_base_PS1_.numbered_sgpr, 18
	.set _ZN9rocsparseL19csrcolor_kernel_jplILj256EiiEEvT1_S1_PKT0_PKS1_21rocsparse_index_base_PS1_.num_named_barrier, 0
	.set _ZN9rocsparseL19csrcolor_kernel_jplILj256EiiEEvT1_S1_PKT0_PKS1_21rocsparse_index_base_PS1_.private_seg_size, 0
	.set _ZN9rocsparseL19csrcolor_kernel_jplILj256EiiEEvT1_S1_PKT0_PKS1_21rocsparse_index_base_PS1_.uses_vcc, 1
	.set _ZN9rocsparseL19csrcolor_kernel_jplILj256EiiEEvT1_S1_PKT0_PKS1_21rocsparse_index_base_PS1_.uses_flat_scratch, 0
	.set _ZN9rocsparseL19csrcolor_kernel_jplILj256EiiEEvT1_S1_PKT0_PKS1_21rocsparse_index_base_PS1_.has_dyn_sized_stack, 0
	.set _ZN9rocsparseL19csrcolor_kernel_jplILj256EiiEEvT1_S1_PKT0_PKS1_21rocsparse_index_base_PS1_.has_recursion, 0
	.set _ZN9rocsparseL19csrcolor_kernel_jplILj256EiiEEvT1_S1_PKT0_PKS1_21rocsparse_index_base_PS1_.has_indirect_call, 0
	.section	.AMDGPU.csdata,"",@progbits
; Kernel info:
; codeLenInByte = 732
; TotalNumSgprs: 20
; NumVgprs: 9
; ScratchSize: 0
; MemoryBound: 0
; FloatMode: 240
; IeeeMode: 1
; LDSByteSize: 0 bytes/workgroup (compile time only)
; SGPRBlocks: 0
; VGPRBlocks: 0
; NumSGPRsForWavesPerEU: 20
; NumVGPRsForWavesPerEU: 9
; NamedBarCnt: 0
; Occupancy: 16
; WaveLimiterHint : 1
; COMPUTE_PGM_RSRC2:SCRATCH_EN: 0
; COMPUTE_PGM_RSRC2:USER_SGPR: 2
; COMPUTE_PGM_RSRC2:TRAP_HANDLER: 0
; COMPUTE_PGM_RSRC2:TGID_X_EN: 1
; COMPUTE_PGM_RSRC2:TGID_Y_EN: 0
; COMPUTE_PGM_RSRC2:TGID_Z_EN: 0
; COMPUTE_PGM_RSRC2:TIDIG_COMP_CNT: 0
	.section	.text._ZN9rocsparseL31csrcolor_kernel_count_uncoloredILj256EiEEvT0_PKS1_PS1_,"axG",@progbits,_ZN9rocsparseL31csrcolor_kernel_count_uncoloredILj256EiEEvT0_PKS1_PS1_,comdat
	.globl	_ZN9rocsparseL31csrcolor_kernel_count_uncoloredILj256EiEEvT0_PKS1_PS1_ ; -- Begin function _ZN9rocsparseL31csrcolor_kernel_count_uncoloredILj256EiEEvT0_PKS1_PS1_
	.p2align	8
	.type	_ZN9rocsparseL31csrcolor_kernel_count_uncoloredILj256EiEEvT0_PKS1_PS1_,@function
_ZN9rocsparseL31csrcolor_kernel_count_uncoloredILj256EiEEvT0_PKS1_PS1_: ; @_ZN9rocsparseL31csrcolor_kernel_count_uncoloredILj256EiEEvT0_PKS1_PS1_
; %bb.0:
	s_clause 0x1
	s_load_b32 s2, s[0:1], 0x24
	s_load_b32 s8, s[0:1], 0x0
	s_bfe_u32 s3, ttmp6, 0x4000c
	s_and_b32 s4, ttmp6, 15
	s_add_co_i32 s3, s3, 1
	s_getreg_b32 s5, hwreg(HW_REG_IB_STS2, 6, 4)
	s_mul_i32 s3, ttmp9, s3
	v_mov_b32_e32 v6, 0
	s_add_co_i32 s4, s4, s3
	s_cmp_eq_u32 s5, 0
	s_mov_b32 s9, exec_lo
	s_cselect_b32 s3, ttmp9, s4
	s_wait_kmcnt 0x0
	s_and_b32 s2, s2, 0xffff
	s_delay_alu instid0(SALU_CYCLE_1) | instskip(NEXT) | instid1(VALU_DEP_1)
	v_mad_u32 v2, s3, s2, v0
	v_cmpx_gt_i32_e64 s8, v2
	s_cbranch_execz .LBB1_10
; %bb.1:
	s_add_nc_u64 s[4:5], s[0:1], 24
	v_mov_b32_e32 v6, 0
	s_load_b32 s5, s[4:5], 0x0
	s_wait_kmcnt 0x0
	s_mul_i32 s4, s5, s2
	s_add_co_i32 s5, s3, s5
	s_cvt_f32_u32 s6, s4
	s_mul_i32 s5, s5, s2
	s_delay_alu instid0(SALU_CYCLE_1) | instskip(NEXT) | instid1(SALU_CYCLE_1)
	v_add_nc_u32_e32 v3, s5, v0
	v_rcp_iflag_f32_e32 v1, s6
	s_load_b64 s[6:7], s[0:1], 0x8
	s_delay_alu instid0(VALU_DEP_1) | instskip(NEXT) | instid1(TRANS32_DEP_1)
	v_cmp_gt_i32_e32 vcc_lo, s8, v3
	v_readfirstlane_b32 s2, v1
	v_max_i32_e32 v1, s8, v3
	v_add_co_ci_u32_e64 v3, null, s5, v0, vcc_lo
	s_sub_co_i32 s5, 0, s4
	s_mul_f32 s2, s2, 0x4f7ffffe
	v_sub_nc_u32_e32 v1, v1, v3
	s_delay_alu instid0(SALU_CYCLE_2) | instskip(NEXT) | instid1(SALU_CYCLE_3)
	s_cvt_u32_f32 s2, s2
	s_mul_i32 s5, s5, s2
	s_delay_alu instid0(SALU_CYCLE_1) | instskip(NEXT) | instid1(SALU_CYCLE_1)
	s_mul_hi_u32 s5, s2, s5
	s_add_co_i32 s2, s2, s5
	s_mov_b32 s5, exec_lo
	v_mul_hi_u32 v3, v1, s2
	s_delay_alu instid0(VALU_DEP_1) | instskip(NEXT) | instid1(VALU_DEP_1)
	v_mul_lo_u32 v4, v3, s4
	v_dual_sub_nc_u32 v1, v1, v4 :: v_dual_add_nc_u32 v4, 1, v3
	s_delay_alu instid0(VALU_DEP_1) | instskip(NEXT) | instid1(VALU_DEP_1)
	v_cmp_le_u32_e64 s2, s4, v1
	v_cndmask_b32_e64 v3, v3, v4, s2
	s_delay_alu instid0(VALU_DEP_1) | instskip(SKIP_1) | instid1(VALU_DEP_1)
	v_add_nc_u32_e32 v4, 1, v3
	v_subrev_nc_u32_e32 v5, s4, v1
	v_cndmask_b32_e64 v1, v1, v5, s2
	s_delay_alu instid0(VALU_DEP_1) | instskip(NEXT) | instid1(VALU_DEP_1)
	v_cmp_le_u32_e64 s2, s4, v1
	v_cndmask_b32_e64 v1, v3, v4, s2
	s_mov_b32 s2, -1
	s_delay_alu instid0(VALU_DEP_1) | instskip(NEXT) | instid1(VALU_DEP_1)
	v_add_co_ci_u32_e64 v1, null, 1, v1, vcc_lo
	v_cmpx_lt_u32_e32 1, v1
	s_cbranch_execz .LBB1_5
; %bb.2:
	v_dual_add_nc_u32 v3, s4, v2 :: v_dual_bitop2_b32 v6, -2, v1 bitop3:0x40
	v_dual_mov_b32 v7, 0 :: v_dual_mov_b32 v8, 0
	s_lshl_b32 s10, s4, 1
	s_delay_alu instid0(VALU_DEP_2) | instskip(NEXT) | instid1(VALU_DEP_3)
	v_mov_b32_e32 v9, v6
	v_mov_b64_e32 v[4:5], v[2:3]
	s_mov_b32 s12, s10
	s_mov_b32 s11, 0
.LBB1_3:                                ; =>This Inner Loop Header: Depth=1
	s_wait_kmcnt 0x0
	s_clause 0x1
	global_load_b32 v3, v5, s[6:7] scale_offset
	global_load_b32 v10, v4, s[6:7] scale_offset
	s_wait_xcnt 0x0
	v_dual_add_nc_u32 v9, -2, v9 :: v_dual_add_nc_u32 v4, s10, v4
	v_add_nc_u32_e32 v5, s12, v5
	s_delay_alu instid0(VALU_DEP_2) | instskip(SKIP_3) | instid1(VALU_DEP_1)
	v_cmp_eq_u32_e32 vcc_lo, 0, v9
	s_or_b32 s11, vcc_lo, s11
	s_wait_loadcnt 0x1
	v_cmp_eq_u32_e64 s2, -1, v3
	v_add_co_ci_u32_e64 v8, null, 0, v8, s2
	s_wait_loadcnt 0x0
	v_cmp_eq_u32_e64 s2, -1, v10
	s_delay_alu instid0(VALU_DEP_1)
	v_add_co_ci_u32_e64 v7, null, 0, v7, s2
	s_and_not1_b32 exec_lo, exec_lo, s11
	s_cbranch_execnz .LBB1_3
; %bb.4:
	s_or_b32 exec_lo, exec_lo, s11
	v_mad_u32 v2, v6, s4, v2
	v_cmp_ne_u32_e32 vcc_lo, v1, v6
	v_add_nc_u32_e32 v6, v7, v8
	s_or_not1_b32 s2, vcc_lo, exec_lo
.LBB1_5:
	s_or_b32 exec_lo, exec_lo, s5
	s_and_saveexec_b32 s10, s2
	s_cbranch_execz .LBB1_9
; %bb.6:
	s_delay_alu instid0(VALU_DEP_3) | instskip(SKIP_2) | instid1(VALU_DEP_1)
	v_ashrrev_i32_e32 v3, 31, v2
	s_ashr_i32 s5, s4, 31
	s_wait_kmcnt 0x0
	v_lshl_add_u64 v[4:5], v[2:3], 2, s[6:7]
	s_lshl_b64 s[6:7], s[4:5], 2
	s_mov_b32 s5, 0
.LBB1_7:                                ; =>This Inner Loop Header: Depth=1
	global_load_b32 v1, v[4:5], off
	v_add_nc_u32_e32 v2, s4, v2
	s_wait_xcnt 0x0
	v_add_nc_u64_e32 v[4:5], s[6:7], v[4:5]
	s_delay_alu instid0(VALU_DEP_2) | instskip(SKIP_3) | instid1(VALU_DEP_1)
	v_cmp_le_i32_e32 vcc_lo, s8, v2
	s_or_b32 s5, vcc_lo, s5
	s_wait_loadcnt 0x0
	v_cmp_eq_u32_e64 s2, -1, v1
	v_add_co_ci_u32_e64 v6, null, 0, v6, s2
	s_and_not1_b32 exec_lo, exec_lo, s5
	s_cbranch_execnz .LBB1_7
; %bb.8:
	s_or_b32 exec_lo, exec_lo, s5
.LBB1_9:
	s_delay_alu instid0(SALU_CYCLE_1)
	s_or_b32 exec_lo, exec_lo, s10
.LBB1_10:
	s_delay_alu instid0(SALU_CYCLE_1)
	s_or_b32 exec_lo, exec_lo, s9
	v_lshlrev_b32_e32 v1, 2, v0
	s_mov_b32 s2, exec_lo
	ds_store_b32 v1, v6
	s_wait_dscnt 0x0
	s_barrier_signal -1
	s_barrier_wait -1
	v_cmpx_gt_u32_e32 0x80, v0
	s_cbranch_execz .LBB1_12
; %bb.11:
	ds_load_2addr_stride64_b32 v[2:3], v1 offset1:2
	s_wait_dscnt 0x0
	v_add_nc_u32_e32 v2, v3, v2
	ds_store_b32 v1, v2
.LBB1_12:
	s_or_b32 exec_lo, exec_lo, s2
	s_delay_alu instid0(SALU_CYCLE_1)
	s_mov_b32 s2, exec_lo
	s_wait_dscnt 0x0
	s_barrier_signal -1
	s_barrier_wait -1
	v_cmpx_gt_u32_e32 64, v0
	s_cbranch_execz .LBB1_14
; %bb.13:
	ds_load_2addr_stride64_b32 v[2:3], v1 offset1:1
	s_wait_dscnt 0x0
	v_add_nc_u32_e32 v2, v3, v2
	ds_store_b32 v1, v2
.LBB1_14:
	s_or_b32 exec_lo, exec_lo, s2
	s_delay_alu instid0(SALU_CYCLE_1)
	s_mov_b32 s2, exec_lo
	s_wait_dscnt 0x0
	s_barrier_signal -1
	s_barrier_wait -1
	v_cmpx_gt_u32_e32 32, v0
	s_cbranch_execz .LBB1_16
; %bb.15:
	ds_load_2addr_b32 v[2:3], v1 offset1:32
	s_wait_dscnt 0x0
	v_add_nc_u32_e32 v2, v3, v2
	ds_store_b32 v1, v2
.LBB1_16:
	s_or_b32 exec_lo, exec_lo, s2
	s_delay_alu instid0(SALU_CYCLE_1)
	s_mov_b32 s2, exec_lo
	s_wait_dscnt 0x0
	s_barrier_signal -1
	s_barrier_wait -1
	v_cmpx_gt_u32_e32 16, v0
	s_cbranch_execz .LBB1_18
; %bb.17:
	ds_load_2addr_b32 v[2:3], v1 offset1:16
	s_wait_dscnt 0x0
	v_add_nc_u32_e32 v2, v3, v2
	ds_store_b32 v1, v2
.LBB1_18:
	;; [unrolled: 14-line block ×5, first 2 shown]
	s_or_b32 exec_lo, exec_lo, s2
	v_cmp_eq_u32_e32 vcc_lo, 0, v0
	s_wait_dscnt 0x0
	s_barrier_signal -1
	s_barrier_wait -1
	s_and_saveexec_b32 s2, vcc_lo
	s_cbranch_execz .LBB1_26
; %bb.25:
	v_mov_b32_e32 v2, 0
	ds_load_b64 v[0:1], v2
	s_wait_dscnt 0x0
	v_add_nc_u32_e32 v0, v1, v0
	ds_store_b32 v2, v0
.LBB1_26:
	s_or_b32 exec_lo, exec_lo, s2
	s_wait_dscnt 0x0
	s_barrier_signal -1
	s_barrier_wait -1
	s_and_saveexec_b32 s2, vcc_lo
	s_cbranch_execz .LBB1_28
; %bb.27:
	v_dual_mov_b32 v0, 0 :: v_dual_mov_b32 v1, s3
	s_wait_xcnt 0x0
	s_load_b64 s[0:1], s[0:1], 0x10
	ds_load_b32 v0, v0
	s_wait_dscnt 0x0
	s_wait_kmcnt 0x0
	global_store_b32 v1, v0, s[0:1] scale_offset
.LBB1_28:
	s_endpgm
	.section	.rodata,"a",@progbits
	.p2align	6, 0x0
	.amdhsa_kernel _ZN9rocsparseL31csrcolor_kernel_count_uncoloredILj256EiEEvT0_PKS1_PS1_
		.amdhsa_group_segment_fixed_size 1024
		.amdhsa_private_segment_fixed_size 0
		.amdhsa_kernarg_size 280
		.amdhsa_user_sgpr_count 2
		.amdhsa_user_sgpr_dispatch_ptr 0
		.amdhsa_user_sgpr_queue_ptr 0
		.amdhsa_user_sgpr_kernarg_segment_ptr 1
		.amdhsa_user_sgpr_dispatch_id 0
		.amdhsa_user_sgpr_kernarg_preload_length 0
		.amdhsa_user_sgpr_kernarg_preload_offset 0
		.amdhsa_user_sgpr_private_segment_size 0
		.amdhsa_wavefront_size32 1
		.amdhsa_uses_dynamic_stack 0
		.amdhsa_enable_private_segment 0
		.amdhsa_system_sgpr_workgroup_id_x 1
		.amdhsa_system_sgpr_workgroup_id_y 0
		.amdhsa_system_sgpr_workgroup_id_z 0
		.amdhsa_system_sgpr_workgroup_info 0
		.amdhsa_system_vgpr_workitem_id 0
		.amdhsa_next_free_vgpr 11
		.amdhsa_next_free_sgpr 13
		.amdhsa_named_barrier_count 0
		.amdhsa_reserve_vcc 1
		.amdhsa_float_round_mode_32 0
		.amdhsa_float_round_mode_16_64 0
		.amdhsa_float_denorm_mode_32 3
		.amdhsa_float_denorm_mode_16_64 3
		.amdhsa_fp16_overflow 0
		.amdhsa_memory_ordered 1
		.amdhsa_forward_progress 1
		.amdhsa_inst_pref_size 10
		.amdhsa_round_robin_scheduling 0
		.amdhsa_exception_fp_ieee_invalid_op 0
		.amdhsa_exception_fp_denorm_src 0
		.amdhsa_exception_fp_ieee_div_zero 0
		.amdhsa_exception_fp_ieee_overflow 0
		.amdhsa_exception_fp_ieee_underflow 0
		.amdhsa_exception_fp_ieee_inexact 0
		.amdhsa_exception_int_div_zero 0
	.end_amdhsa_kernel
	.section	.text._ZN9rocsparseL31csrcolor_kernel_count_uncoloredILj256EiEEvT0_PKS1_PS1_,"axG",@progbits,_ZN9rocsparseL31csrcolor_kernel_count_uncoloredILj256EiEEvT0_PKS1_PS1_,comdat
.Lfunc_end1:
	.size	_ZN9rocsparseL31csrcolor_kernel_count_uncoloredILj256EiEEvT0_PKS1_PS1_, .Lfunc_end1-_ZN9rocsparseL31csrcolor_kernel_count_uncoloredILj256EiEEvT0_PKS1_PS1_
                                        ; -- End function
	.set _ZN9rocsparseL31csrcolor_kernel_count_uncoloredILj256EiEEvT0_PKS1_PS1_.num_vgpr, 11
	.set _ZN9rocsparseL31csrcolor_kernel_count_uncoloredILj256EiEEvT0_PKS1_PS1_.num_agpr, 0
	.set _ZN9rocsparseL31csrcolor_kernel_count_uncoloredILj256EiEEvT0_PKS1_PS1_.numbered_sgpr, 13
	.set _ZN9rocsparseL31csrcolor_kernel_count_uncoloredILj256EiEEvT0_PKS1_PS1_.num_named_barrier, 0
	.set _ZN9rocsparseL31csrcolor_kernel_count_uncoloredILj256EiEEvT0_PKS1_PS1_.private_seg_size, 0
	.set _ZN9rocsparseL31csrcolor_kernel_count_uncoloredILj256EiEEvT0_PKS1_PS1_.uses_vcc, 1
	.set _ZN9rocsparseL31csrcolor_kernel_count_uncoloredILj256EiEEvT0_PKS1_PS1_.uses_flat_scratch, 0
	.set _ZN9rocsparseL31csrcolor_kernel_count_uncoloredILj256EiEEvT0_PKS1_PS1_.has_dyn_sized_stack, 0
	.set _ZN9rocsparseL31csrcolor_kernel_count_uncoloredILj256EiEEvT0_PKS1_PS1_.has_recursion, 0
	.set _ZN9rocsparseL31csrcolor_kernel_count_uncoloredILj256EiEEvT0_PKS1_PS1_.has_indirect_call, 0
	.section	.AMDGPU.csdata,"",@progbits
; Kernel info:
; codeLenInByte = 1184
; TotalNumSgprs: 15
; NumVgprs: 11
; ScratchSize: 0
; MemoryBound: 0
; FloatMode: 240
; IeeeMode: 1
; LDSByteSize: 1024 bytes/workgroup (compile time only)
; SGPRBlocks: 0
; VGPRBlocks: 0
; NumSGPRsForWavesPerEU: 15
; NumVGPRsForWavesPerEU: 11
; NamedBarCnt: 0
; Occupancy: 16
; WaveLimiterHint : 0
; COMPUTE_PGM_RSRC2:SCRATCH_EN: 0
; COMPUTE_PGM_RSRC2:USER_SGPR: 2
; COMPUTE_PGM_RSRC2:TRAP_HANDLER: 0
; COMPUTE_PGM_RSRC2:TGID_X_EN: 1
; COMPUTE_PGM_RSRC2:TGID_Y_EN: 0
; COMPUTE_PGM_RSRC2:TGID_Z_EN: 0
; COMPUTE_PGM_RSRC2:TIDIG_COMP_CNT: 0
	.section	.text._ZN9rocsparseL40csrcolor_kernel_count_uncolored_finalizeILj256EiEEvPT0_,"axG",@progbits,_ZN9rocsparseL40csrcolor_kernel_count_uncolored_finalizeILj256EiEEvPT0_,comdat
	.globl	_ZN9rocsparseL40csrcolor_kernel_count_uncolored_finalizeILj256EiEEvPT0_ ; -- Begin function _ZN9rocsparseL40csrcolor_kernel_count_uncolored_finalizeILj256EiEEvPT0_
	.p2align	8
	.type	_ZN9rocsparseL40csrcolor_kernel_count_uncolored_finalizeILj256EiEEvPT0_,@function
_ZN9rocsparseL40csrcolor_kernel_count_uncolored_finalizeILj256EiEEvPT0_: ; @_ZN9rocsparseL40csrcolor_kernel_count_uncolored_finalizeILj256EiEEvPT0_
; %bb.0:
	s_load_b64 s[0:1], s[0:1], 0x0
	v_lshlrev_b32_e32 v1, 2, v0
	s_mov_b32 s2, exec_lo
	s_wait_kmcnt 0x0
	global_load_b32 v2, v0, s[0:1] scale_offset
	s_wait_loadcnt 0x0
	ds_store_b32 v1, v2
	s_wait_dscnt 0x0
	s_barrier_signal -1
	s_barrier_wait -1
	v_cmpx_gt_u32_e32 0x80, v0
	s_cbranch_execz .LBB2_2
; %bb.1:
	ds_load_2addr_stride64_b32 v[2:3], v1 offset1:2
	s_wait_dscnt 0x0
	v_add_nc_u32_e32 v2, v3, v2
	ds_store_b32 v1, v2
.LBB2_2:
	s_or_b32 exec_lo, exec_lo, s2
	s_delay_alu instid0(SALU_CYCLE_1)
	s_mov_b32 s2, exec_lo
	s_wait_dscnt 0x0
	s_barrier_signal -1
	s_barrier_wait -1
	v_cmpx_gt_u32_e32 64, v0
	s_cbranch_execz .LBB2_4
; %bb.3:
	ds_load_2addr_stride64_b32 v[2:3], v1 offset1:1
	s_wait_dscnt 0x0
	v_add_nc_u32_e32 v2, v3, v2
	ds_store_b32 v1, v2
.LBB2_4:
	s_or_b32 exec_lo, exec_lo, s2
	s_delay_alu instid0(SALU_CYCLE_1)
	s_mov_b32 s2, exec_lo
	s_wait_dscnt 0x0
	s_barrier_signal -1
	s_barrier_wait -1
	v_cmpx_gt_u32_e32 32, v0
	s_cbranch_execz .LBB2_6
; %bb.5:
	ds_load_2addr_b32 v[2:3], v1 offset1:32
	s_wait_dscnt 0x0
	v_add_nc_u32_e32 v2, v3, v2
	ds_store_b32 v1, v2
.LBB2_6:
	s_or_b32 exec_lo, exec_lo, s2
	s_delay_alu instid0(SALU_CYCLE_1)
	s_mov_b32 s2, exec_lo
	s_wait_dscnt 0x0
	s_barrier_signal -1
	s_barrier_wait -1
	v_cmpx_gt_u32_e32 16, v0
	s_cbranch_execz .LBB2_8
; %bb.7:
	ds_load_2addr_b32 v[2:3], v1 offset1:16
	s_wait_dscnt 0x0
	v_add_nc_u32_e32 v2, v3, v2
	ds_store_b32 v1, v2
.LBB2_8:
	;; [unrolled: 14-line block ×5, first 2 shown]
	s_or_b32 exec_lo, exec_lo, s2
	v_cmp_eq_u32_e32 vcc_lo, 0, v0
	s_wait_dscnt 0x0
	s_barrier_signal -1
	s_barrier_wait -1
	s_and_saveexec_b32 s2, vcc_lo
	s_cbranch_execz .LBB2_16
; %bb.15:
	v_mov_b32_e32 v2, 0
	ds_load_b64 v[0:1], v2
	s_wait_dscnt 0x0
	v_add_nc_u32_e32 v0, v1, v0
	ds_store_b32 v2, v0
.LBB2_16:
	s_or_b32 exec_lo, exec_lo, s2
	s_wait_dscnt 0x0
	s_barrier_signal -1
	s_barrier_wait -1
	s_and_saveexec_b32 s2, vcc_lo
	s_cbranch_execz .LBB2_18
; %bb.17:
	v_mov_b32_e32 v0, 0
	ds_load_b32 v1, v0
	s_wait_dscnt 0x0
	global_store_b32 v0, v1, s[0:1]
.LBB2_18:
	s_endpgm
	.section	.rodata,"a",@progbits
	.p2align	6, 0x0
	.amdhsa_kernel _ZN9rocsparseL40csrcolor_kernel_count_uncolored_finalizeILj256EiEEvPT0_
		.amdhsa_group_segment_fixed_size 1024
		.amdhsa_private_segment_fixed_size 0
		.amdhsa_kernarg_size 8
		.amdhsa_user_sgpr_count 2
		.amdhsa_user_sgpr_dispatch_ptr 0
		.amdhsa_user_sgpr_queue_ptr 0
		.amdhsa_user_sgpr_kernarg_segment_ptr 1
		.amdhsa_user_sgpr_dispatch_id 0
		.amdhsa_user_sgpr_kernarg_preload_length 0
		.amdhsa_user_sgpr_kernarg_preload_offset 0
		.amdhsa_user_sgpr_private_segment_size 0
		.amdhsa_wavefront_size32 1
		.amdhsa_uses_dynamic_stack 0
		.amdhsa_enable_private_segment 0
		.amdhsa_system_sgpr_workgroup_id_x 1
		.amdhsa_system_sgpr_workgroup_id_y 0
		.amdhsa_system_sgpr_workgroup_id_z 0
		.amdhsa_system_sgpr_workgroup_info 0
		.amdhsa_system_vgpr_workitem_id 0
		.amdhsa_next_free_vgpr 4
		.amdhsa_next_free_sgpr 3
		.amdhsa_named_barrier_count 0
		.amdhsa_reserve_vcc 1
		.amdhsa_float_round_mode_32 0
		.amdhsa_float_round_mode_16_64 0
		.amdhsa_float_denorm_mode_32 3
		.amdhsa_float_denorm_mode_16_64 3
		.amdhsa_fp16_overflow 0
		.amdhsa_memory_ordered 1
		.amdhsa_forward_progress 1
		.amdhsa_inst_pref_size 5
		.amdhsa_round_robin_scheduling 0
		.amdhsa_exception_fp_ieee_invalid_op 0
		.amdhsa_exception_fp_denorm_src 0
		.amdhsa_exception_fp_ieee_div_zero 0
		.amdhsa_exception_fp_ieee_overflow 0
		.amdhsa_exception_fp_ieee_underflow 0
		.amdhsa_exception_fp_ieee_inexact 0
		.amdhsa_exception_int_div_zero 0
	.end_amdhsa_kernel
	.section	.text._ZN9rocsparseL40csrcolor_kernel_count_uncolored_finalizeILj256EiEEvPT0_,"axG",@progbits,_ZN9rocsparseL40csrcolor_kernel_count_uncolored_finalizeILj256EiEEvPT0_,comdat
.Lfunc_end2:
	.size	_ZN9rocsparseL40csrcolor_kernel_count_uncolored_finalizeILj256EiEEvPT0_, .Lfunc_end2-_ZN9rocsparseL40csrcolor_kernel_count_uncolored_finalizeILj256EiEEvPT0_
                                        ; -- End function
	.set _ZN9rocsparseL40csrcolor_kernel_count_uncolored_finalizeILj256EiEEvPT0_.num_vgpr, 4
	.set _ZN9rocsparseL40csrcolor_kernel_count_uncolored_finalizeILj256EiEEvPT0_.num_agpr, 0
	.set _ZN9rocsparseL40csrcolor_kernel_count_uncolored_finalizeILj256EiEEvPT0_.numbered_sgpr, 3
	.set _ZN9rocsparseL40csrcolor_kernel_count_uncolored_finalizeILj256EiEEvPT0_.num_named_barrier, 0
	.set _ZN9rocsparseL40csrcolor_kernel_count_uncolored_finalizeILj256EiEEvPT0_.private_seg_size, 0
	.set _ZN9rocsparseL40csrcolor_kernel_count_uncolored_finalizeILj256EiEEvPT0_.uses_vcc, 1
	.set _ZN9rocsparseL40csrcolor_kernel_count_uncolored_finalizeILj256EiEEvPT0_.uses_flat_scratch, 0
	.set _ZN9rocsparseL40csrcolor_kernel_count_uncolored_finalizeILj256EiEEvPT0_.has_dyn_sized_stack, 0
	.set _ZN9rocsparseL40csrcolor_kernel_count_uncolored_finalizeILj256EiEEvPT0_.has_recursion, 0
	.set _ZN9rocsparseL40csrcolor_kernel_count_uncolored_finalizeILj256EiEEvPT0_.has_indirect_call, 0
	.section	.AMDGPU.csdata,"",@progbits
; Kernel info:
; codeLenInByte = 540
; TotalNumSgprs: 5
; NumVgprs: 4
; ScratchSize: 0
; MemoryBound: 0
; FloatMode: 240
; IeeeMode: 1
; LDSByteSize: 1024 bytes/workgroup (compile time only)
; SGPRBlocks: 0
; VGPRBlocks: 0
; NumSGPRsForWavesPerEU: 5
; NumVGPRsForWavesPerEU: 4
; NamedBarCnt: 0
; Occupancy: 16
; WaveLimiterHint : 0
; COMPUTE_PGM_RSRC2:SCRATCH_EN: 0
; COMPUTE_PGM_RSRC2:USER_SGPR: 2
; COMPUTE_PGM_RSRC2:TRAP_HANDLER: 0
; COMPUTE_PGM_RSRC2:TGID_X_EN: 1
; COMPUTE_PGM_RSRC2:TGID_Y_EN: 0
; COMPUTE_PGM_RSRC2:TGID_Z_EN: 0
; COMPUTE_PGM_RSRC2:TIDIG_COMP_CNT: 0
	.section	.text._ZN9rocsparseL28csrcolor_kernel_count_colorsILj256EiEEvT0_PKS1_PS1_,"axG",@progbits,_ZN9rocsparseL28csrcolor_kernel_count_colorsILj256EiEEvT0_PKS1_PS1_,comdat
	.globl	_ZN9rocsparseL28csrcolor_kernel_count_colorsILj256EiEEvT0_PKS1_PS1_ ; -- Begin function _ZN9rocsparseL28csrcolor_kernel_count_colorsILj256EiEEvT0_PKS1_PS1_
	.p2align	8
	.type	_ZN9rocsparseL28csrcolor_kernel_count_colorsILj256EiEEvT0_PKS1_PS1_,@function
_ZN9rocsparseL28csrcolor_kernel_count_colorsILj256EiEEvT0_PKS1_PS1_: ; @_ZN9rocsparseL28csrcolor_kernel_count_colorsILj256EiEEvT0_PKS1_PS1_
; %bb.0:
	s_clause 0x1
	s_load_b32 s2, s[0:1], 0x24
	s_load_b32 s9, s[0:1], 0x0
	s_bfe_u32 s3, ttmp6, 0x4000c
	s_and_b32 s4, ttmp6, 15
	s_add_co_i32 s3, s3, 1
	s_getreg_b32 s5, hwreg(HW_REG_IB_STS2, 6, 4)
	s_mul_i32 s3, ttmp9, s3
	v_mov_b32_e32 v6, 0
	s_add_co_i32 s4, s4, s3
	s_cmp_eq_u32 s5, 0
	s_mov_b32 s10, exec_lo
	s_cselect_b32 s8, ttmp9, s4
	s_wait_kmcnt 0x0
	s_and_b32 s2, s2, 0xffff
	s_delay_alu instid0(SALU_CYCLE_1) | instskip(NEXT) | instid1(VALU_DEP_1)
	v_mad_u32 v2, s8, s2, v0
	v_cmpx_gt_i32_e64 s9, v2
	s_cbranch_execz .LBB3_10
; %bb.1:
	s_add_nc_u64 s[4:5], s[0:1], 24
	s_load_b64 s[6:7], s[0:1], 0x8
	s_load_b32 s3, s[4:5], 0x0
	v_mov_b32_e32 v6, 0
	s_wait_kmcnt 0x0
	s_mul_i32 s4, s3, s2
	s_add_co_i32 s3, s8, s3
	s_cvt_f32_u32 s5, s4
	s_mul_i32 s3, s3, s2
	s_delay_alu instid0(SALU_CYCLE_1) | instskip(NEXT) | instid1(SALU_CYCLE_1)
	v_add_nc_u32_e32 v3, s3, v0
	v_rcp_iflag_f32_e32 v1, s5
	s_delay_alu instid0(VALU_DEP_1) | instskip(NEXT) | instid1(TRANS32_DEP_1)
	v_cmp_gt_i32_e32 vcc_lo, s9, v3
	v_readfirstlane_b32 s2, v1
	v_max_i32_e32 v1, s9, v3
	v_add_co_ci_u32_e64 v3, null, s3, v0, vcc_lo
	s_sub_co_i32 s3, 0, s4
	s_mul_f32 s2, s2, 0x4f7ffffe
	v_sub_nc_u32_e32 v1, v1, v3
	s_delay_alu instid0(SALU_CYCLE_2) | instskip(NEXT) | instid1(SALU_CYCLE_3)
	s_cvt_u32_f32 s2, s2
	s_mul_i32 s3, s3, s2
	s_delay_alu instid0(SALU_CYCLE_1) | instskip(NEXT) | instid1(SALU_CYCLE_1)
	s_mul_hi_u32 s3, s2, s3
	s_add_co_i32 s2, s2, s3
	s_mov_b32 s3, -1
	v_mul_hi_u32 v3, v1, s2
	s_delay_alu instid0(VALU_DEP_1) | instskip(NEXT) | instid1(VALU_DEP_1)
	v_mul_lo_u32 v4, v3, s4
	v_dual_sub_nc_u32 v1, v1, v4 :: v_dual_add_nc_u32 v4, 1, v3
	s_delay_alu instid0(VALU_DEP_1) | instskip(NEXT) | instid1(VALU_DEP_1)
	v_cmp_le_u32_e64 s2, s4, v1
	v_cndmask_b32_e64 v3, v3, v4, s2
	s_delay_alu instid0(VALU_DEP_1) | instskip(SKIP_1) | instid1(VALU_DEP_1)
	v_add_nc_u32_e32 v4, 1, v3
	v_subrev_nc_u32_e32 v5, s4, v1
	v_cndmask_b32_e64 v1, v1, v5, s2
	s_delay_alu instid0(VALU_DEP_1) | instskip(NEXT) | instid1(VALU_DEP_1)
	v_cmp_le_u32_e64 s2, s4, v1
	v_cndmask_b32_e64 v1, v3, v4, s2
	s_mov_b32 s2, exec_lo
	s_delay_alu instid0(VALU_DEP_1) | instskip(NEXT) | instid1(VALU_DEP_1)
	v_add_co_ci_u32_e64 v1, null, 1, v1, vcc_lo
	v_cmpx_lt_u32_e32 1, v1
	s_cbranch_execz .LBB3_5
; %bb.2:
	v_dual_add_nc_u32 v3, s4, v2 :: v_dual_bitop2_b32 v6, -2, v1 bitop3:0x40
	v_dual_mov_b32 v7, 0 :: v_dual_mov_b32 v8, 0
	s_lshl_b32 s3, s4, 1
	s_delay_alu instid0(VALU_DEP_2) | instskip(NEXT) | instid1(VALU_DEP_3)
	v_mov_b32_e32 v9, v6
	v_mov_b64_e32 v[4:5], v[2:3]
	s_mov_b32 s11, s3
	s_mov_b32 s5, 0
.LBB3_3:                                ; =>This Inner Loop Header: Depth=1
	s_clause 0x1
	global_load_b32 v3, v5, s[6:7] scale_offset
	global_load_b32 v10, v4, s[6:7] scale_offset
	s_wait_xcnt 0x0
	v_dual_add_nc_u32 v9, -2, v9 :: v_dual_add_nc_u32 v4, s3, v4
	v_add_nc_u32_e32 v5, s11, v5
	s_delay_alu instid0(VALU_DEP_2)
	v_cmp_eq_u32_e32 vcc_lo, 0, v9
	s_or_b32 s5, vcc_lo, s5
	s_wait_loadcnt 0x1
	v_max_i32_e32 v8, v3, v8
	s_wait_loadcnt 0x0
	v_max_i32_e32 v7, v10, v7
	s_and_not1_b32 exec_lo, exec_lo, s5
	s_cbranch_execnz .LBB3_3
; %bb.4:
	s_or_b32 exec_lo, exec_lo, s5
	v_mad_u32 v2, v6, s4, v2
	v_cmp_ne_u32_e32 vcc_lo, v1, v6
	v_max_i32_e32 v6, v7, v8
	s_or_not1_b32 s3, vcc_lo, exec_lo
.LBB3_5:
	s_or_b32 exec_lo, exec_lo, s2
	s_and_saveexec_b32 s11, s3
	s_cbranch_execz .LBB3_9
; %bb.6:
	s_delay_alu instid0(VALU_DEP_3) | instskip(SKIP_1) | instid1(SALU_CYCLE_1)
	v_ashrrev_i32_e32 v3, 31, v2
	s_ashr_i32 s5, s4, 31
	s_lshl_b64 s[2:3], s[4:5], 2
	s_mov_b32 s5, 0
	s_delay_alu instid0(VALU_DEP_1)
	v_lshl_add_u64 v[4:5], v[2:3], 2, s[6:7]
.LBB3_7:                                ; =>This Inner Loop Header: Depth=1
	global_load_b32 v1, v[4:5], off
	v_add_nc_u32_e32 v2, s4, v2
	s_wait_xcnt 0x0
	v_add_nc_u64_e32 v[4:5], s[2:3], v[4:5]
	s_delay_alu instid0(VALU_DEP_2)
	v_cmp_le_i32_e32 vcc_lo, s9, v2
	s_or_b32 s5, vcc_lo, s5
	s_wait_loadcnt 0x0
	v_max_i32_e32 v6, v1, v6
	s_and_not1_b32 exec_lo, exec_lo, s5
	s_cbranch_execnz .LBB3_7
; %bb.8:
	s_or_b32 exec_lo, exec_lo, s5
.LBB3_9:
	s_delay_alu instid0(SALU_CYCLE_1)
	s_or_b32 exec_lo, exec_lo, s11
.LBB3_10:
	s_delay_alu instid0(SALU_CYCLE_1)
	s_or_b32 exec_lo, exec_lo, s10
	v_lshlrev_b32_e32 v1, 2, v0
	s_mov_b32 s2, exec_lo
	ds_store_b32 v1, v6
	s_wait_dscnt 0x0
	s_barrier_signal -1
	s_barrier_wait -1
	v_cmpx_gt_u32_e32 0x80, v0
	s_cbranch_execz .LBB3_12
; %bb.11:
	ds_load_2addr_stride64_b32 v[2:3], v1 offset1:2
	s_wait_dscnt 0x0
	v_max_i32_e32 v2, v2, v3
	ds_store_b32 v1, v2
.LBB3_12:
	s_or_b32 exec_lo, exec_lo, s2
	s_delay_alu instid0(SALU_CYCLE_1)
	s_mov_b32 s2, exec_lo
	s_wait_dscnt 0x0
	s_barrier_signal -1
	s_barrier_wait -1
	v_cmpx_gt_u32_e32 64, v0
	s_cbranch_execz .LBB3_14
; %bb.13:
	ds_load_2addr_stride64_b32 v[2:3], v1 offset1:1
	s_wait_dscnt 0x0
	v_max_i32_e32 v2, v2, v3
	ds_store_b32 v1, v2
.LBB3_14:
	s_or_b32 exec_lo, exec_lo, s2
	s_delay_alu instid0(SALU_CYCLE_1)
	s_mov_b32 s2, exec_lo
	s_wait_dscnt 0x0
	s_barrier_signal -1
	s_barrier_wait -1
	v_cmpx_gt_u32_e32 32, v0
	s_cbranch_execz .LBB3_16
; %bb.15:
	ds_load_2addr_b32 v[2:3], v1 offset1:32
	s_wait_dscnt 0x0
	v_max_i32_e32 v2, v2, v3
	ds_store_b32 v1, v2
.LBB3_16:
	s_or_b32 exec_lo, exec_lo, s2
	s_delay_alu instid0(SALU_CYCLE_1)
	s_mov_b32 s2, exec_lo
	s_wait_dscnt 0x0
	s_barrier_signal -1
	s_barrier_wait -1
	v_cmpx_gt_u32_e32 16, v0
	s_cbranch_execz .LBB3_18
; %bb.17:
	ds_load_2addr_b32 v[2:3], v1 offset1:16
	s_wait_dscnt 0x0
	v_max_i32_e32 v2, v2, v3
	ds_store_b32 v1, v2
.LBB3_18:
	;; [unrolled: 14-line block ×5, first 2 shown]
	s_or_b32 exec_lo, exec_lo, s2
	v_cmp_eq_u32_e32 vcc_lo, 0, v0
	s_wait_dscnt 0x0
	s_barrier_signal -1
	s_barrier_wait -1
	s_and_saveexec_b32 s2, vcc_lo
	s_cbranch_execz .LBB3_26
; %bb.25:
	v_mov_b32_e32 v2, 0
	ds_load_b64 v[0:1], v2
	s_wait_dscnt 0x0
	v_max_i32_e32 v0, v0, v1
	ds_store_b32 v2, v0
.LBB3_26:
	s_or_b32 exec_lo, exec_lo, s2
	s_wait_dscnt 0x0
	s_barrier_signal -1
	s_barrier_wait -1
	s_and_saveexec_b32 s2, vcc_lo
	s_cbranch_execz .LBB3_28
; %bb.27:
	v_dual_mov_b32 v0, 0 :: v_dual_mov_b32 v1, s8
	s_load_b64 s[0:1], s[0:1], 0x10
	ds_load_b32 v0, v0
	s_wait_dscnt 0x0
	s_wait_kmcnt 0x0
	global_store_b32 v1, v0, s[0:1] scale_offset
.LBB3_28:
	s_endpgm
	.section	.rodata,"a",@progbits
	.p2align	6, 0x0
	.amdhsa_kernel _ZN9rocsparseL28csrcolor_kernel_count_colorsILj256EiEEvT0_PKS1_PS1_
		.amdhsa_group_segment_fixed_size 1024
		.amdhsa_private_segment_fixed_size 0
		.amdhsa_kernarg_size 280
		.amdhsa_user_sgpr_count 2
		.amdhsa_user_sgpr_dispatch_ptr 0
		.amdhsa_user_sgpr_queue_ptr 0
		.amdhsa_user_sgpr_kernarg_segment_ptr 1
		.amdhsa_user_sgpr_dispatch_id 0
		.amdhsa_user_sgpr_kernarg_preload_length 0
		.amdhsa_user_sgpr_kernarg_preload_offset 0
		.amdhsa_user_sgpr_private_segment_size 0
		.amdhsa_wavefront_size32 1
		.amdhsa_uses_dynamic_stack 0
		.amdhsa_enable_private_segment 0
		.amdhsa_system_sgpr_workgroup_id_x 1
		.amdhsa_system_sgpr_workgroup_id_y 0
		.amdhsa_system_sgpr_workgroup_id_z 0
		.amdhsa_system_sgpr_workgroup_info 0
		.amdhsa_system_vgpr_workitem_id 0
		.amdhsa_next_free_vgpr 11
		.amdhsa_next_free_sgpr 12
		.amdhsa_named_barrier_count 0
		.amdhsa_reserve_vcc 1
		.amdhsa_float_round_mode_32 0
		.amdhsa_float_round_mode_16_64 0
		.amdhsa_float_denorm_mode_32 3
		.amdhsa_float_denorm_mode_16_64 3
		.amdhsa_fp16_overflow 0
		.amdhsa_memory_ordered 1
		.amdhsa_forward_progress 1
		.amdhsa_inst_pref_size 9
		.amdhsa_round_robin_scheduling 0
		.amdhsa_exception_fp_ieee_invalid_op 0
		.amdhsa_exception_fp_denorm_src 0
		.amdhsa_exception_fp_ieee_div_zero 0
		.amdhsa_exception_fp_ieee_overflow 0
		.amdhsa_exception_fp_ieee_underflow 0
		.amdhsa_exception_fp_ieee_inexact 0
		.amdhsa_exception_int_div_zero 0
	.end_amdhsa_kernel
	.section	.text._ZN9rocsparseL28csrcolor_kernel_count_colorsILj256EiEEvT0_PKS1_PS1_,"axG",@progbits,_ZN9rocsparseL28csrcolor_kernel_count_colorsILj256EiEEvT0_PKS1_PS1_,comdat
.Lfunc_end3:
	.size	_ZN9rocsparseL28csrcolor_kernel_count_colorsILj256EiEEvT0_PKS1_PS1_, .Lfunc_end3-_ZN9rocsparseL28csrcolor_kernel_count_colorsILj256EiEEvT0_PKS1_PS1_
                                        ; -- End function
	.set _ZN9rocsparseL28csrcolor_kernel_count_colorsILj256EiEEvT0_PKS1_PS1_.num_vgpr, 11
	.set _ZN9rocsparseL28csrcolor_kernel_count_colorsILj256EiEEvT0_PKS1_PS1_.num_agpr, 0
	.set _ZN9rocsparseL28csrcolor_kernel_count_colorsILj256EiEEvT0_PKS1_PS1_.numbered_sgpr, 12
	.set _ZN9rocsparseL28csrcolor_kernel_count_colorsILj256EiEEvT0_PKS1_PS1_.num_named_barrier, 0
	.set _ZN9rocsparseL28csrcolor_kernel_count_colorsILj256EiEEvT0_PKS1_PS1_.private_seg_size, 0
	.set _ZN9rocsparseL28csrcolor_kernel_count_colorsILj256EiEEvT0_PKS1_PS1_.uses_vcc, 1
	.set _ZN9rocsparseL28csrcolor_kernel_count_colorsILj256EiEEvT0_PKS1_PS1_.uses_flat_scratch, 0
	.set _ZN9rocsparseL28csrcolor_kernel_count_colorsILj256EiEEvT0_PKS1_PS1_.has_dyn_sized_stack, 0
	.set _ZN9rocsparseL28csrcolor_kernel_count_colorsILj256EiEEvT0_PKS1_PS1_.has_recursion, 0
	.set _ZN9rocsparseL28csrcolor_kernel_count_colorsILj256EiEEvT0_PKS1_PS1_.has_indirect_call, 0
	.section	.AMDGPU.csdata,"",@progbits
; Kernel info:
; codeLenInByte = 1136
; TotalNumSgprs: 14
; NumVgprs: 11
; ScratchSize: 0
; MemoryBound: 0
; FloatMode: 240
; IeeeMode: 1
; LDSByteSize: 1024 bytes/workgroup (compile time only)
; SGPRBlocks: 0
; VGPRBlocks: 0
; NumSGPRsForWavesPerEU: 14
; NumVGPRsForWavesPerEU: 11
; NamedBarCnt: 0
; Occupancy: 16
; WaveLimiterHint : 0
; COMPUTE_PGM_RSRC2:SCRATCH_EN: 0
; COMPUTE_PGM_RSRC2:USER_SGPR: 2
; COMPUTE_PGM_RSRC2:TRAP_HANDLER: 0
; COMPUTE_PGM_RSRC2:TGID_X_EN: 1
; COMPUTE_PGM_RSRC2:TGID_Y_EN: 0
; COMPUTE_PGM_RSRC2:TGID_Z_EN: 0
; COMPUTE_PGM_RSRC2:TIDIG_COMP_CNT: 0
	.section	.text._ZN9rocsparseL37csrcolor_kernel_count_colors_finalizeILj256EiEEvPT0_,"axG",@progbits,_ZN9rocsparseL37csrcolor_kernel_count_colors_finalizeILj256EiEEvPT0_,comdat
	.globl	_ZN9rocsparseL37csrcolor_kernel_count_colors_finalizeILj256EiEEvPT0_ ; -- Begin function _ZN9rocsparseL37csrcolor_kernel_count_colors_finalizeILj256EiEEvPT0_
	.p2align	8
	.type	_ZN9rocsparseL37csrcolor_kernel_count_colors_finalizeILj256EiEEvPT0_,@function
_ZN9rocsparseL37csrcolor_kernel_count_colors_finalizeILj256EiEEvPT0_: ; @_ZN9rocsparseL37csrcolor_kernel_count_colors_finalizeILj256EiEEvPT0_
; %bb.0:
	s_load_b64 s[0:1], s[0:1], 0x0
	v_lshlrev_b32_e32 v1, 2, v0
	s_mov_b32 s2, exec_lo
	s_wait_kmcnt 0x0
	global_load_b32 v2, v0, s[0:1] scale_offset
	s_wait_loadcnt 0x0
	ds_store_b32 v1, v2
	s_wait_dscnt 0x0
	s_barrier_signal -1
	s_barrier_wait -1
	v_cmpx_gt_u32_e32 0x80, v0
	s_cbranch_execz .LBB4_2
; %bb.1:
	ds_load_2addr_stride64_b32 v[2:3], v1 offset1:2
	s_wait_dscnt 0x0
	v_max_i32_e32 v2, v2, v3
	ds_store_b32 v1, v2
.LBB4_2:
	s_or_b32 exec_lo, exec_lo, s2
	s_delay_alu instid0(SALU_CYCLE_1)
	s_mov_b32 s2, exec_lo
	s_wait_dscnt 0x0
	s_barrier_signal -1
	s_barrier_wait -1
	v_cmpx_gt_u32_e32 64, v0
	s_cbranch_execz .LBB4_4
; %bb.3:
	ds_load_2addr_stride64_b32 v[2:3], v1 offset1:1
	s_wait_dscnt 0x0
	v_max_i32_e32 v2, v2, v3
	ds_store_b32 v1, v2
.LBB4_4:
	s_or_b32 exec_lo, exec_lo, s2
	s_delay_alu instid0(SALU_CYCLE_1)
	s_mov_b32 s2, exec_lo
	s_wait_dscnt 0x0
	s_barrier_signal -1
	s_barrier_wait -1
	v_cmpx_gt_u32_e32 32, v0
	s_cbranch_execz .LBB4_6
; %bb.5:
	ds_load_2addr_b32 v[2:3], v1 offset1:32
	s_wait_dscnt 0x0
	v_max_i32_e32 v2, v2, v3
	ds_store_b32 v1, v2
.LBB4_6:
	s_or_b32 exec_lo, exec_lo, s2
	s_delay_alu instid0(SALU_CYCLE_1)
	s_mov_b32 s2, exec_lo
	s_wait_dscnt 0x0
	s_barrier_signal -1
	s_barrier_wait -1
	v_cmpx_gt_u32_e32 16, v0
	s_cbranch_execz .LBB4_8
; %bb.7:
	ds_load_2addr_b32 v[2:3], v1 offset1:16
	s_wait_dscnt 0x0
	v_max_i32_e32 v2, v2, v3
	ds_store_b32 v1, v2
.LBB4_8:
	;; [unrolled: 14-line block ×5, first 2 shown]
	s_or_b32 exec_lo, exec_lo, s2
	v_cmp_eq_u32_e32 vcc_lo, 0, v0
	s_wait_dscnt 0x0
	s_barrier_signal -1
	s_barrier_wait -1
	s_and_saveexec_b32 s2, vcc_lo
	s_cbranch_execz .LBB4_16
; %bb.15:
	v_mov_b32_e32 v2, 0
	ds_load_b64 v[0:1], v2
	s_wait_dscnt 0x0
	v_max_i32_e32 v0, v0, v1
	ds_store_b32 v2, v0
.LBB4_16:
	s_or_b32 exec_lo, exec_lo, s2
	s_wait_dscnt 0x0
	s_barrier_signal -1
	s_barrier_wait -1
	s_and_saveexec_b32 s2, vcc_lo
	s_cbranch_execz .LBB4_18
; %bb.17:
	v_mov_b32_e32 v0, 0
	ds_load_b32 v1, v0
	s_wait_dscnt 0x0
	global_store_b32 v0, v1, s[0:1]
.LBB4_18:
	s_endpgm
	.section	.rodata,"a",@progbits
	.p2align	6, 0x0
	.amdhsa_kernel _ZN9rocsparseL37csrcolor_kernel_count_colors_finalizeILj256EiEEvPT0_
		.amdhsa_group_segment_fixed_size 1024
		.amdhsa_private_segment_fixed_size 0
		.amdhsa_kernarg_size 8
		.amdhsa_user_sgpr_count 2
		.amdhsa_user_sgpr_dispatch_ptr 0
		.amdhsa_user_sgpr_queue_ptr 0
		.amdhsa_user_sgpr_kernarg_segment_ptr 1
		.amdhsa_user_sgpr_dispatch_id 0
		.amdhsa_user_sgpr_kernarg_preload_length 0
		.amdhsa_user_sgpr_kernarg_preload_offset 0
		.amdhsa_user_sgpr_private_segment_size 0
		.amdhsa_wavefront_size32 1
		.amdhsa_uses_dynamic_stack 0
		.amdhsa_enable_private_segment 0
		.amdhsa_system_sgpr_workgroup_id_x 1
		.amdhsa_system_sgpr_workgroup_id_y 0
		.amdhsa_system_sgpr_workgroup_id_z 0
		.amdhsa_system_sgpr_workgroup_info 0
		.amdhsa_system_vgpr_workitem_id 0
		.amdhsa_next_free_vgpr 4
		.amdhsa_next_free_sgpr 3
		.amdhsa_named_barrier_count 0
		.amdhsa_reserve_vcc 1
		.amdhsa_float_round_mode_32 0
		.amdhsa_float_round_mode_16_64 0
		.amdhsa_float_denorm_mode_32 3
		.amdhsa_float_denorm_mode_16_64 3
		.amdhsa_fp16_overflow 0
		.amdhsa_memory_ordered 1
		.amdhsa_forward_progress 1
		.amdhsa_inst_pref_size 5
		.amdhsa_round_robin_scheduling 0
		.amdhsa_exception_fp_ieee_invalid_op 0
		.amdhsa_exception_fp_denorm_src 0
		.amdhsa_exception_fp_ieee_div_zero 0
		.amdhsa_exception_fp_ieee_overflow 0
		.amdhsa_exception_fp_ieee_underflow 0
		.amdhsa_exception_fp_ieee_inexact 0
		.amdhsa_exception_int_div_zero 0
	.end_amdhsa_kernel
	.section	.text._ZN9rocsparseL37csrcolor_kernel_count_colors_finalizeILj256EiEEvPT0_,"axG",@progbits,_ZN9rocsparseL37csrcolor_kernel_count_colors_finalizeILj256EiEEvPT0_,comdat
.Lfunc_end4:
	.size	_ZN9rocsparseL37csrcolor_kernel_count_colors_finalizeILj256EiEEvPT0_, .Lfunc_end4-_ZN9rocsparseL37csrcolor_kernel_count_colors_finalizeILj256EiEEvPT0_
                                        ; -- End function
	.set _ZN9rocsparseL37csrcolor_kernel_count_colors_finalizeILj256EiEEvPT0_.num_vgpr, 4
	.set _ZN9rocsparseL37csrcolor_kernel_count_colors_finalizeILj256EiEEvPT0_.num_agpr, 0
	.set _ZN9rocsparseL37csrcolor_kernel_count_colors_finalizeILj256EiEEvPT0_.numbered_sgpr, 3
	.set _ZN9rocsparseL37csrcolor_kernel_count_colors_finalizeILj256EiEEvPT0_.num_named_barrier, 0
	.set _ZN9rocsparseL37csrcolor_kernel_count_colors_finalizeILj256EiEEvPT0_.private_seg_size, 0
	.set _ZN9rocsparseL37csrcolor_kernel_count_colors_finalizeILj256EiEEvPT0_.uses_vcc, 1
	.set _ZN9rocsparseL37csrcolor_kernel_count_colors_finalizeILj256EiEEvPT0_.uses_flat_scratch, 0
	.set _ZN9rocsparseL37csrcolor_kernel_count_colors_finalizeILj256EiEEvPT0_.has_dyn_sized_stack, 0
	.set _ZN9rocsparseL37csrcolor_kernel_count_colors_finalizeILj256EiEEvPT0_.has_recursion, 0
	.set _ZN9rocsparseL37csrcolor_kernel_count_colors_finalizeILj256EiEEvPT0_.has_indirect_call, 0
	.section	.AMDGPU.csdata,"",@progbits
; Kernel info:
; codeLenInByte = 540
; TotalNumSgprs: 5
; NumVgprs: 4
; ScratchSize: 0
; MemoryBound: 0
; FloatMode: 240
; IeeeMode: 1
; LDSByteSize: 1024 bytes/workgroup (compile time only)
; SGPRBlocks: 0
; VGPRBlocks: 0
; NumSGPRsForWavesPerEU: 5
; NumVGPRsForWavesPerEU: 4
; NamedBarCnt: 0
; Occupancy: 16
; WaveLimiterHint : 0
; COMPUTE_PGM_RSRC2:SCRATCH_EN: 0
; COMPUTE_PGM_RSRC2:USER_SGPR: 2
; COMPUTE_PGM_RSRC2:TRAP_HANDLER: 0
; COMPUTE_PGM_RSRC2:TGID_X_EN: 1
; COMPUTE_PGM_RSRC2:TGID_Y_EN: 0
; COMPUTE_PGM_RSRC2:TGID_Z_EN: 0
; COMPUTE_PGM_RSRC2:TIDIG_COMP_CNT: 0
	.section	.text._ZN9rocsparseL15count_uncoloredILi256EiEEvT0_S1_S1_PKS1_PS1_,"axG",@progbits,_ZN9rocsparseL15count_uncoloredILi256EiEEvT0_S1_S1_PKS1_PS1_,comdat
	.globl	_ZN9rocsparseL15count_uncoloredILi256EiEEvT0_S1_S1_PKS1_PS1_ ; -- Begin function _ZN9rocsparseL15count_uncoloredILi256EiEEvT0_S1_S1_PKS1_PS1_
	.p2align	8
	.type	_ZN9rocsparseL15count_uncoloredILi256EiEEvT0_S1_S1_PKS1_PS1_,@function
_ZN9rocsparseL15count_uncoloredILi256EiEEvT0_S1_S1_PKS1_PS1_: ; @_ZN9rocsparseL15count_uncoloredILi256EiEEvT0_S1_S1_PKS1_PS1_
; %bb.0:
	s_clause 0x1
	s_load_b32 s11, s[0:1], 0x4
	s_load_b64 s[4:5], s[0:1], 0x10
	s_bfe_u32 s2, ttmp6, 0x4000c
	s_and_b32 s3, ttmp6, 15
	s_add_co_i32 s2, s2, 1
	s_getreg_b32 s6, hwreg(HW_REG_IB_STS2, 6, 4)
	s_mul_i32 s2, ttmp9, s2
	s_delay_alu instid0(SALU_CYCLE_1)
	s_add_co_i32 s3, s3, s2
	s_cmp_eq_u32 s6, 0
	s_mov_b32 s6, 0
	s_cselect_b32 s10, ttmp9, s3
	s_wait_kmcnt 0x0
	v_cmp_gt_i32_e32 vcc_lo, s11, v0
	s_ashr_i32 s2, s11, 31
	s_delay_alu instid0(SALU_CYCLE_1) | instskip(NEXT) | instid1(SALU_CYCLE_1)
	s_lshr_b32 s2, s2, 24
	s_add_co_i32 s2, s11, s2
	v_cndmask_b32_e32 v1, 0, v0, vcc_lo
	s_and_b32 s2, s2, 0xffffff00
	s_cmp_lt_i32 s11, 0x100
	s_cselect_b32 s12, -1, 0
	s_delay_alu instid0(VALU_DEP_1) | instskip(SKIP_1) | instid1(VALU_DEP_1)
	v_mad_u32 v4, s11, s10, v1
	s_and_b32 vcc_lo, exec_lo, s12
	v_dual_mov_b32 v1, 0 :: v_dual_ashrrev_i32 v5, 31, v4
	s_delay_alu instid0(VALU_DEP_1)
	v_lshl_add_u64 v[2:3], v[4:5], 2, s[4:5]
	s_cbranch_vccnz .LBB5_8
; %bb.1:
	s_max_i32 s7, s2, 0x100
	s_mov_b32 s3, -1
	s_add_co_i32 s7, s7, -1
	s_delay_alu instid0(SALU_CYCLE_1)
	s_cmp_eq_u32 s7, 0xff
	s_cbranch_scc1 .LBB5_5
; %bb.2:
	s_lshr_b32 s3, s7, 8
	v_dual_mov_b32 v1, 0 :: v_dual_mov_b32 v6, 0
	s_add_co_i32 s3, s3, 1
	s_mov_b32 s9, 0
	s_and_b32 s13, s3, 0x1fffffe
	s_movk_i32 s6, 0x100
	s_mov_b32 s14, s13
	s_mov_b32 s8, s9
.LBB5_3:                                ; =>This Inner Loop Header: Depth=1
	s_mov_b32 s7, s9
	v_lshl_add_u64 v[8:9], s[8:9], 2, v[2:3]
	v_lshl_add_u64 v[10:11], s[6:7], 2, v[2:3]
	s_add_co_i32 s14, s14, -2
	s_addk_co_i32 s8, 0x200
	s_addk_co_i32 s6, 0x200
	s_clause 0x1
	global_load_b32 v7, v[8:9], off
	global_load_b32 v12, v[10:11], off
	s_cmp_lg_u32 s14, 0
	s_wait_loadcnt 0x1
	v_cmp_eq_u32_e32 vcc_lo, -1, v7
	v_add_co_ci_u32_e64 v1, null, 0, v1, vcc_lo
	s_wait_loadcnt 0x0
	v_cmp_eq_u32_e32 vcc_lo, -1, v12
	v_add_co_ci_u32_e64 v6, null, 0, v6, vcc_lo
	s_cbranch_scc1 .LBB5_3
; %bb.4:
	s_lshl_b32 s6, s13, 8
	s_cmp_lg_u32 s3, s13
	v_add_nc_u32_e32 v1, v1, v6
	s_cselect_b32 s3, -1, 0
	s_delay_alu instid0(SALU_CYCLE_1)
	s_and_b32 vcc_lo, exec_lo, s3
	s_cbranch_vccnz .LBB5_6
	s_branch .LBB5_8
.LBB5_5:
	v_mov_b32_e32 v1, 0
	s_and_b32 vcc_lo, exec_lo, s3
	s_cbranch_vccz .LBB5_8
.LBB5_6:
	s_mov_b32 s7, 0
	s_delay_alu instid0(SALU_CYCLE_1) | instskip(NEXT) | instid1(SALU_CYCLE_1)
	s_lshl_b64 s[8:9], s[6:7], 2
	s_add_nc_u64 s[4:5], s[4:5], s[8:9]
	s_delay_alu instid0(SALU_CYCLE_1)
	v_lshl_add_u64 v[4:5], v[4:5], 2, s[4:5]
.LBB5_7:                                ; =>This Inner Loop Header: Depth=1
	global_load_b32 v6, v[4:5], off
	s_wait_xcnt 0x0
	v_add_nc_u64_e32 v[4:5], 0x400, v[4:5]
	s_addk_co_i32 s6, 0x100
	s_delay_alu instid0(SALU_CYCLE_1)
	s_cmp_ge_i32 s6, s2
	s_wait_loadcnt 0x0
	v_cmp_eq_u32_e32 vcc_lo, -1, v6
	v_add_co_ci_u32_e64 v1, null, 0, v1, vcc_lo
	s_cbranch_scc0 .LBB5_7
.LBB5_8:
	v_add_nc_u32_e32 v4, s2, v0
	s_mov_b32 s4, exec_lo
	s_delay_alu instid0(VALU_DEP_1)
	v_cmpx_gt_i32_e64 s11, v4
	s_cbranch_execz .LBB5_10
; %bb.9:
	s_ashr_i32 s3, s2, 31
	s_delay_alu instid0(SALU_CYCLE_1)
	v_lshl_add_u64 v[2:3], s[2:3], 2, v[2:3]
	global_load_b32 v2, v[2:3], off
	s_wait_loadcnt 0x0
	v_cmp_eq_u32_e32 vcc_lo, -1, v2
	v_add_co_ci_u32_e64 v1, null, 0, v1, vcc_lo
.LBB5_10:
	s_or_b32 exec_lo, exec_lo, s4
	v_lshlrev_b32_e32 v3, 2, v0
	v_cmp_eq_u32_e64 s2, 0, v0
	s_mov_b32 s3, -1
	s_and_b32 vcc_lo, exec_lo, s12
	ds_store_b32 v3, v1
	s_wait_dscnt 0x0
	s_cbranch_vccz .LBB5_26
; %bb.11:
	s_cmp_gt_i32 s11, 1
	s_mov_b32 s3, 1
	s_cselect_b32 s4, -1, 0
	s_barrier_signal -1
	s_and_b32 s4, s2, s4
	s_barrier_wait -1
	s_and_saveexec_b32 s2, s4
	s_cbranch_execz .LBB5_25
; %bb.12:
	v_mov_b32_e32 v1, 0
	s_cmp_lt_u32 s11, 5
	ds_load_b32 v2, v1
	s_cbranch_scc1 .LBB5_17
; %bb.13:
	s_add_co_i32 s4, s11, -5
	v_mov_b64_e32 v[4:5], 0
	s_lshr_b32 s3, s4, 2
	s_delay_alu instid0(SALU_CYCLE_1)
	s_add_co_i32 s3, s3, 1
	s_cmp_lt_u32 s4, 28
	s_cbranch_scc1 .LBB5_18
; %bb.14:
	v_dual_mov_b32 v4, 0 :: v_dual_mov_b32 v5, 0
	v_mov_b32_e32 v1, 0
	s_and_b32 s5, s3, 0x7ffffff8
	s_mov_b32 s4, 0
	s_mov_b32 s6, 4
.LBB5_15:                               ; =>This Inner Loop Header: Depth=1
	s_delay_alu instid0(SALU_CYCLE_1)
	v_mov_b32_e32 v32, s6
	s_add_co_i32 s5, s5, -8
	s_add_co_i32 s4, s4, 32
	s_addk_co_i32 s6, 0x80
	s_cmp_lg_u32 s5, 0
	ds_load_2addr_b32 v[6:7], v32 offset1:1
	ds_load_2addr_b32 v[8:9], v32 offset0:2 offset1:3
	ds_load_2addr_b32 v[10:11], v32 offset0:4 offset1:5
	;; [unrolled: 1-line block ×12, first 2 shown]
	s_wait_dscnt 0xc
	v_dual_add_nc_u32 v1, v1, v7 :: v_dual_add_nc_u32 v2, v2, v6
	s_wait_dscnt 0xb
	v_dual_add_nc_u32 v6, v5, v9 :: v_dual_add_nc_u32 v7, v4, v8
	ds_load_2addr_b32 v[4:5], v32 offset0:26 offset1:27
	s_wait_dscnt 0xb
	v_dual_add_nc_u32 v1, v1, v11 :: v_dual_add_nc_u32 v2, v2, v10
	s_wait_dscnt 0xa
	v_dual_add_nc_u32 v8, v6, v13 :: v_dual_add_nc_u32 v9, v7, v12
	ds_load_2addr_b32 v[6:7], v32 offset0:28 offset1:29
	;; [unrolled: 5-line block ×3, first 2 shown]
	s_wait_dscnt 0x9
	v_dual_add_nc_u32 v1, v1, v19 :: v_dual_add_nc_u32 v2, v2, v18
	s_wait_dscnt 0x8
	v_dual_add_nc_u32 v10, v10, v21 :: v_dual_add_nc_u32 v11, v11, v20
	s_wait_dscnt 0x7
	s_delay_alu instid0(VALU_DEP_2) | instskip(SKIP_1) | instid1(VALU_DEP_2)
	v_dual_add_nc_u32 v1, v1, v23 :: v_dual_add_nc_u32 v2, v2, v22
	s_wait_dscnt 0x6
	v_dual_add_nc_u32 v10, v10, v25 :: v_dual_add_nc_u32 v11, v11, v24
	s_wait_dscnt 0x5
	s_delay_alu instid0(VALU_DEP_2) | instskip(SKIP_1) | instid1(VALU_DEP_2)
	;; [unrolled: 5-line block ×4, first 2 shown]
	v_dual_add_nc_u32 v1, v1, v7 :: v_dual_add_nc_u32 v2, v2, v6
	s_wait_dscnt 0x0
	v_dual_add_nc_u32 v5, v5, v9 :: v_dual_add_nc_u32 v4, v4, v8
	s_cbranch_scc1 .LBB5_15
; %bb.16:
	s_and_b32 s3, s3, 7
	s_delay_alu instid0(SALU_CYCLE_1)
	s_cmp_eq_u32 s3, 0
	s_cbranch_scc0 .LBB5_19
	s_branch .LBB5_21
.LBB5_17:
	s_cbranch_execnz .LBB5_22
	s_branch .LBB5_24
.LBB5_18:
	s_mov_b32 s4, 0
	s_and_b32 s3, s3, 7
	s_delay_alu instid0(SALU_CYCLE_1)
	s_cmp_eq_u32 s3, 0
	s_cbranch_scc1 .LBB5_21
.LBB5_19:
	s_lshl_b32 s4, s4, 2
	s_delay_alu instid0(SALU_CYCLE_1)
	s_add_co_i32 s4, s4, 4
.LBB5_20:                               ; =>This Inner Loop Header: Depth=1
	s_delay_alu instid0(SALU_CYCLE_1)
	v_mov_b32_e32 v8, s4
	s_add_co_i32 s3, s3, -1
	s_add_co_i32 s4, s4, 16
	s_cmp_lg_u32 s3, 0
	ds_load_2addr_b32 v[6:7], v8 offset1:1
	ds_load_2addr_b32 v[8:9], v8 offset0:2 offset1:3
	s_wait_dscnt 0x1
	v_dual_add_nc_u32 v1, v1, v7 :: v_dual_add_nc_u32 v2, v2, v6
	s_wait_dscnt 0x0
	v_dual_add_nc_u32 v5, v5, v9 :: v_dual_add_nc_u32 v4, v4, v8
	s_cbranch_scc1 .LBB5_20
.LBB5_21:
	s_wait_dscnt 0x0
	s_delay_alu instid0(VALU_DEP_1) | instskip(SKIP_1) | instid1(SALU_CYCLE_1)
	v_dual_add_nc_u32 v1, v5, v1 :: v_dual_add_nc_u32 v2, v4, v2
	s_add_co_i32 s4, s11, -1
	s_and_b32 s5, s4, -4
	s_delay_alu instid0(SALU_CYCLE_1) | instskip(NEXT) | instid1(VALU_DEP_1)
	s_or_b32 s3, s5, 1
	v_add_nc_u32_e32 v2, v2, v1
	s_cmp_lg_u32 s4, s5
	s_cselect_b32 s4, -1, 0
	s_delay_alu instid0(SALU_CYCLE_1)
	s_and_b32 vcc_lo, exec_lo, s4
	s_cbranch_vccz .LBB5_24
.LBB5_22:
	s_sub_co_i32 s4, s11, s3
	s_lshl_b32 s3, s3, 2
.LBB5_23:                               ; =>This Inner Loop Header: Depth=1
	s_delay_alu instid0(SALU_CYCLE_1)
	v_mov_b32_e32 v1, s3
	s_add_co_i32 s4, s4, -1
	s_add_co_i32 s3, s3, 4
	s_cmp_lg_u32 s4, 0
	ds_load_b32 v1, v1
	s_wait_dscnt 0x0
	v_add_nc_u32_e32 v2, v2, v1
	s_cbranch_scc1 .LBB5_23
.LBB5_24:
	v_mov_b32_e32 v1, 0
	s_wait_dscnt 0x0
	ds_store_b32 v1, v2
.LBB5_25:
	s_or_b32 exec_lo, exec_lo, s2
	s_mov_b32 s3, 0
	s_wait_dscnt 0x0
	s_barrier_signal -1
	s_barrier_wait -1
.LBB5_26:
	s_and_b32 vcc_lo, exec_lo, s3
	s_cbranch_vccz .LBB5_44
; %bb.27:
	s_mov_b32 s2, exec_lo
	s_barrier_signal -1
	s_barrier_wait -1
	v_cmpx_gt_u32_e32 0x80, v0
	s_cbranch_execz .LBB5_29
; %bb.28:
	ds_load_2addr_stride64_b32 v[4:5], v3 offset1:2
	s_wait_dscnt 0x0
	v_add_nc_u32_e32 v1, v4, v5
	ds_store_b32 v3, v1
.LBB5_29:
	s_or_b32 exec_lo, exec_lo, s2
	s_delay_alu instid0(SALU_CYCLE_1)
	s_mov_b32 s2, exec_lo
	s_wait_dscnt 0x0
	s_barrier_signal -1
	s_barrier_wait -1
	v_cmpx_gt_u32_e32 64, v0
	s_cbranch_execz .LBB5_31
; %bb.30:
	ds_load_2addr_stride64_b32 v[4:5], v3 offset1:1
	s_wait_dscnt 0x0
	v_add_nc_u32_e32 v1, v4, v5
	ds_store_b32 v3, v1
.LBB5_31:
	s_or_b32 exec_lo, exec_lo, s2
	s_delay_alu instid0(SALU_CYCLE_1)
	s_mov_b32 s2, exec_lo
	s_wait_dscnt 0x0
	s_barrier_signal -1
	s_barrier_wait -1
	v_cmpx_gt_u32_e32 32, v0
	s_cbranch_execz .LBB5_33
; %bb.32:
	ds_load_2addr_b32 v[4:5], v3 offset1:32
	s_wait_dscnt 0x0
	v_add_nc_u32_e32 v1, v4, v5
	ds_store_b32 v3, v1
.LBB5_33:
	s_or_b32 exec_lo, exec_lo, s2
	s_delay_alu instid0(SALU_CYCLE_1)
	s_mov_b32 s2, exec_lo
	s_wait_dscnt 0x0
	s_barrier_signal -1
	s_barrier_wait -1
	v_cmpx_gt_u32_e32 16, v0
	s_cbranch_execz .LBB5_35
; %bb.34:
	ds_load_2addr_b32 v[4:5], v3 offset1:16
	s_wait_dscnt 0x0
	v_add_nc_u32_e32 v1, v4, v5
	ds_store_b32 v3, v1
.LBB5_35:
	;; [unrolled: 14-line block ×5, first 2 shown]
	s_or_b32 exec_lo, exec_lo, s2
	s_delay_alu instid0(SALU_CYCLE_1)
	s_mov_b32 s2, exec_lo
	s_wait_dscnt 0x0
	s_barrier_signal -1
	s_barrier_wait -1
	v_cmpx_eq_u32_e32 0, v0
	s_cbranch_execz .LBB5_43
; %bb.42:
	v_mov_b32_e32 v1, 0
	ds_load_b64 v[2:3], v1
	s_wait_dscnt 0x0
	v_add_nc_u32_e32 v2, v2, v3
	ds_store_b32 v1, v2
.LBB5_43:
	s_or_b32 exec_lo, exec_lo, s2
	s_wait_dscnt 0x0
	s_barrier_signal -1
	s_barrier_wait -1
.LBB5_44:
	s_mov_b32 s2, exec_lo
	v_cmpx_eq_u32_e32 0, v0
	s_cbranch_execz .LBB5_46
; %bb.45:
	v_dual_mov_b32 v0, 0 :: v_dual_mov_b32 v1, s10
	s_load_b64 s[0:1], s[0:1], 0x18
	ds_load_b32 v0, v0
	s_wait_dscnt 0x0
	s_wait_kmcnt 0x0
	global_store_b32 v1, v0, s[0:1] scale_offset
.LBB5_46:
	s_endpgm
	.section	.rodata,"a",@progbits
	.p2align	6, 0x0
	.amdhsa_kernel _ZN9rocsparseL15count_uncoloredILi256EiEEvT0_S1_S1_PKS1_PS1_
		.amdhsa_group_segment_fixed_size 1024
		.amdhsa_private_segment_fixed_size 0
		.amdhsa_kernarg_size 32
		.amdhsa_user_sgpr_count 2
		.amdhsa_user_sgpr_dispatch_ptr 0
		.amdhsa_user_sgpr_queue_ptr 0
		.amdhsa_user_sgpr_kernarg_segment_ptr 1
		.amdhsa_user_sgpr_dispatch_id 0
		.amdhsa_user_sgpr_kernarg_preload_length 0
		.amdhsa_user_sgpr_kernarg_preload_offset 0
		.amdhsa_user_sgpr_private_segment_size 0
		.amdhsa_wavefront_size32 1
		.amdhsa_uses_dynamic_stack 0
		.amdhsa_enable_private_segment 0
		.amdhsa_system_sgpr_workgroup_id_x 1
		.amdhsa_system_sgpr_workgroup_id_y 0
		.amdhsa_system_sgpr_workgroup_id_z 0
		.amdhsa_system_sgpr_workgroup_info 0
		.amdhsa_system_vgpr_workitem_id 0
		.amdhsa_next_free_vgpr 33
		.amdhsa_next_free_sgpr 15
		.amdhsa_named_barrier_count 0
		.amdhsa_reserve_vcc 1
		.amdhsa_float_round_mode_32 0
		.amdhsa_float_round_mode_16_64 0
		.amdhsa_float_denorm_mode_32 3
		.amdhsa_float_denorm_mode_16_64 3
		.amdhsa_fp16_overflow 0
		.amdhsa_memory_ordered 1
		.amdhsa_forward_progress 1
		.amdhsa_inst_pref_size 15
		.amdhsa_round_robin_scheduling 0
		.amdhsa_exception_fp_ieee_invalid_op 0
		.amdhsa_exception_fp_denorm_src 0
		.amdhsa_exception_fp_ieee_div_zero 0
		.amdhsa_exception_fp_ieee_overflow 0
		.amdhsa_exception_fp_ieee_underflow 0
		.amdhsa_exception_fp_ieee_inexact 0
		.amdhsa_exception_int_div_zero 0
	.end_amdhsa_kernel
	.section	.text._ZN9rocsparseL15count_uncoloredILi256EiEEvT0_S1_S1_PKS1_PS1_,"axG",@progbits,_ZN9rocsparseL15count_uncoloredILi256EiEEvT0_S1_S1_PKS1_PS1_,comdat
.Lfunc_end5:
	.size	_ZN9rocsparseL15count_uncoloredILi256EiEEvT0_S1_S1_PKS1_PS1_, .Lfunc_end5-_ZN9rocsparseL15count_uncoloredILi256EiEEvT0_S1_S1_PKS1_PS1_
                                        ; -- End function
	.set _ZN9rocsparseL15count_uncoloredILi256EiEEvT0_S1_S1_PKS1_PS1_.num_vgpr, 33
	.set _ZN9rocsparseL15count_uncoloredILi256EiEEvT0_S1_S1_PKS1_PS1_.num_agpr, 0
	.set _ZN9rocsparseL15count_uncoloredILi256EiEEvT0_S1_S1_PKS1_PS1_.numbered_sgpr, 15
	.set _ZN9rocsparseL15count_uncoloredILi256EiEEvT0_S1_S1_PKS1_PS1_.num_named_barrier, 0
	.set _ZN9rocsparseL15count_uncoloredILi256EiEEvT0_S1_S1_PKS1_PS1_.private_seg_size, 0
	.set _ZN9rocsparseL15count_uncoloredILi256EiEEvT0_S1_S1_PKS1_PS1_.uses_vcc, 1
	.set _ZN9rocsparseL15count_uncoloredILi256EiEEvT0_S1_S1_PKS1_PS1_.uses_flat_scratch, 0
	.set _ZN9rocsparseL15count_uncoloredILi256EiEEvT0_S1_S1_PKS1_PS1_.has_dyn_sized_stack, 0
	.set _ZN9rocsparseL15count_uncoloredILi256EiEEvT0_S1_S1_PKS1_PS1_.has_recursion, 0
	.set _ZN9rocsparseL15count_uncoloredILi256EiEEvT0_S1_S1_PKS1_PS1_.has_indirect_call, 0
	.section	.AMDGPU.csdata,"",@progbits
; Kernel info:
; codeLenInByte = 1904
; TotalNumSgprs: 17
; NumVgprs: 33
; ScratchSize: 0
; MemoryBound: 0
; FloatMode: 240
; IeeeMode: 1
; LDSByteSize: 1024 bytes/workgroup (compile time only)
; SGPRBlocks: 0
; VGPRBlocks: 2
; NumSGPRsForWavesPerEU: 17
; NumVGPRsForWavesPerEU: 33
; NamedBarCnt: 0
; Occupancy: 16
; WaveLimiterHint : 0
; COMPUTE_PGM_RSRC2:SCRATCH_EN: 0
; COMPUTE_PGM_RSRC2:USER_SGPR: 2
; COMPUTE_PGM_RSRC2:TRAP_HANDLER: 0
; COMPUTE_PGM_RSRC2:TGID_X_EN: 1
; COMPUTE_PGM_RSRC2:TGID_Y_EN: 0
; COMPUTE_PGM_RSRC2:TGID_Z_EN: 0
; COMPUTE_PGM_RSRC2:TIDIG_COMP_CNT: 0
	.section	.text._ZN9rocsparseL32csrcolor_assign_uncolored_kernelILi16ELi32EiEEvT1_S1_S1_S1_PS1_S2_,"axG",@progbits,_ZN9rocsparseL32csrcolor_assign_uncolored_kernelILi16ELi32EiEEvT1_S1_S1_S1_PS1_S2_,comdat
	.globl	_ZN9rocsparseL32csrcolor_assign_uncolored_kernelILi16ELi32EiEEvT1_S1_S1_S1_PS1_S2_ ; -- Begin function _ZN9rocsparseL32csrcolor_assign_uncolored_kernelILi16ELi32EiEEvT1_S1_S1_S1_PS1_S2_
	.p2align	8
	.type	_ZN9rocsparseL32csrcolor_assign_uncolored_kernelILi16ELi32EiEEvT1_S1_S1_S1_PS1_S2_,@function
_ZN9rocsparseL32csrcolor_assign_uncolored_kernelILi16ELi32EiEEvT1_S1_S1_S1_PS1_S2_: ; @_ZN9rocsparseL32csrcolor_assign_uncolored_kernelILi16ELi32EiEEvT1_S1_S1_S1_PS1_S2_
; %bb.0:
	s_load_b128 s[4:7], s[0:1], 0x0
	s_bfe_u32 s2, ttmp6, 0x4000c
	s_and_b32 s3, ttmp6, 15
	s_add_co_i32 s2, s2, 1
	s_getreg_b32 s8, hwreg(HW_REG_IB_STS2, 6, 4)
	s_mul_i32 s2, ttmp9, s2
	v_lshrrev_b32_e32 v1, 5, v0
	s_add_co_i32 s3, s3, s2
	s_cmp_eq_u32 s8, 0
	s_cselect_b32 s2, ttmp9, s3
	s_mov_b32 s3, 0
	v_lshl_or_b32 v2, s2, 4, v1
	v_and_b32_e32 v1, 31, v0
	s_wait_kmcnt 0x0
	s_delay_alu instid0(VALU_DEP_2) | instskip(NEXT) | instid1(VALU_DEP_2)
	v_cmp_gt_i32_e32 vcc_lo, s6, v2
	v_cmp_gt_i32_e64 s2, s5, v1
	s_and_b32 s2, vcc_lo, s2
	s_delay_alu instid0(SALU_CYCLE_1)
	s_and_saveexec_b32 s6, s2
	s_cbranch_execz .LBB6_7
; %bb.1:
	s_load_b128 s[8:11], s[0:1], 0x10
	v_mul_lo_u32 v4, s5, v2
	v_xor_b32_e32 v0, 31, v1
	s_delay_alu instid0(VALU_DEP_1) | instskip(SKIP_4) | instid1(VALU_DEP_1)
	v_lshrrev_b32_e64 v0, v0, -1
	s_wait_kmcnt 0x0
	global_load_b32 v6, v2, s[10:11] scale_offset
	s_wait_xcnt 0x0
	v_dual_mov_b32 v5, 0x7c :: v_dual_add_nc_u32 v2, v4, v1
	v_ashrrev_i32_e32 v3, 31, v2
	s_delay_alu instid0(VALU_DEP_1)
	v_lshl_add_u64 v[2:3], v[2:3], 2, s[8:9]
	s_wait_loadcnt 0x0
	v_add_nc_u32_e32 v6, s7, v6
	s_branch .LBB6_3
.LBB6_2:                                ;   in Loop: Header=BB6_3 Depth=1
	s_wait_xcnt 0x0
	s_or_b32 exec_lo, exec_lo, s1
	ds_bpermute_b32 v7, v5, v7
	v_add_nc_u32_e32 v1, 32, v1
	v_add_nc_u64_e32 v[2:3], 0x80, v[2:3]
	s_wait_dscnt 0x0
	v_add_nc_u32_e32 v6, v7, v6
	s_delay_alu instid0(VALU_DEP_3) | instskip(SKIP_1) | instid1(SALU_CYCLE_1)
	v_cmp_le_i32_e32 vcc_lo, s5, v1
	s_or_b32 s3, vcc_lo, s3
	s_and_not1_b32 exec_lo, exec_lo, s3
	s_cbranch_execz .LBB6_7
.LBB6_3:                                ; =>This Inner Loop Header: Depth=1
	v_add_nc_u32_e32 v7, v4, v1
	s_mov_b32 s0, 0
	s_mov_b32 s1, exec_lo
	s_delay_alu instid0(VALU_DEP_1)
	v_cmpx_gt_i32_e64 s4, v7
	s_cbranch_execz .LBB6_5
; %bb.4:                                ;   in Loop: Header=BB6_3 Depth=1
	global_load_b32 v7, v[2:3], off
	s_wait_loadcnt 0x0
	v_cmp_eq_u32_e32 vcc_lo, -1, v7
	s_and_b32 s0, vcc_lo, exec_lo
.LBB6_5:                                ;   in Loop: Header=BB6_3 Depth=1
	s_wait_xcnt 0x0
	s_or_b32 exec_lo, exec_lo, s1
	v_cndmask_b32_e64 v7, 0, 1, s0
	s_barrier_signal -1
	s_barrier_wait -1
	s_delay_alu instid0(VALU_DEP_1) | instskip(SKIP_1) | instid1(VALU_DEP_1)
	v_cmp_ne_u32_e32 vcc_lo, 0, v7
	v_and_b32_e32 v7, vcc_lo, v0
	v_bcnt_u32_b32 v7, v7, 0
	s_and_saveexec_b32 s1, s0
	s_cbranch_execz .LBB6_2
; %bb.6:                                ;   in Loop: Header=BB6_3 Depth=1
	s_delay_alu instid0(VALU_DEP_1)
	v_add3_u32 v8, v6, v7, -1
	global_store_b32 v[2:3], v8, off
	s_branch .LBB6_2
.LBB6_7:
	s_endpgm
	.section	.rodata,"a",@progbits
	.p2align	6, 0x0
	.amdhsa_kernel _ZN9rocsparseL32csrcolor_assign_uncolored_kernelILi16ELi32EiEEvT1_S1_S1_S1_PS1_S2_
		.amdhsa_group_segment_fixed_size 0
		.amdhsa_private_segment_fixed_size 0
		.amdhsa_kernarg_size 32
		.amdhsa_user_sgpr_count 2
		.amdhsa_user_sgpr_dispatch_ptr 0
		.amdhsa_user_sgpr_queue_ptr 0
		.amdhsa_user_sgpr_kernarg_segment_ptr 1
		.amdhsa_user_sgpr_dispatch_id 0
		.amdhsa_user_sgpr_kernarg_preload_length 0
		.amdhsa_user_sgpr_kernarg_preload_offset 0
		.amdhsa_user_sgpr_private_segment_size 0
		.amdhsa_wavefront_size32 1
		.amdhsa_uses_dynamic_stack 0
		.amdhsa_enable_private_segment 0
		.amdhsa_system_sgpr_workgroup_id_x 1
		.amdhsa_system_sgpr_workgroup_id_y 0
		.amdhsa_system_sgpr_workgroup_id_z 0
		.amdhsa_system_sgpr_workgroup_info 0
		.amdhsa_system_vgpr_workitem_id 0
		.amdhsa_next_free_vgpr 9
		.amdhsa_next_free_sgpr 12
		.amdhsa_named_barrier_count 0
		.amdhsa_reserve_vcc 1
		.amdhsa_float_round_mode_32 0
		.amdhsa_float_round_mode_16_64 0
		.amdhsa_float_denorm_mode_32 3
		.amdhsa_float_denorm_mode_16_64 3
		.amdhsa_fp16_overflow 0
		.amdhsa_memory_ordered 1
		.amdhsa_forward_progress 1
		.amdhsa_inst_pref_size 3
		.amdhsa_round_robin_scheduling 0
		.amdhsa_exception_fp_ieee_invalid_op 0
		.amdhsa_exception_fp_denorm_src 0
		.amdhsa_exception_fp_ieee_div_zero 0
		.amdhsa_exception_fp_ieee_overflow 0
		.amdhsa_exception_fp_ieee_underflow 0
		.amdhsa_exception_fp_ieee_inexact 0
		.amdhsa_exception_int_div_zero 0
	.end_amdhsa_kernel
	.section	.text._ZN9rocsparseL32csrcolor_assign_uncolored_kernelILi16ELi32EiEEvT1_S1_S1_S1_PS1_S2_,"axG",@progbits,_ZN9rocsparseL32csrcolor_assign_uncolored_kernelILi16ELi32EiEEvT1_S1_S1_S1_PS1_S2_,comdat
.Lfunc_end6:
	.size	_ZN9rocsparseL32csrcolor_assign_uncolored_kernelILi16ELi32EiEEvT1_S1_S1_S1_PS1_S2_, .Lfunc_end6-_ZN9rocsparseL32csrcolor_assign_uncolored_kernelILi16ELi32EiEEvT1_S1_S1_S1_PS1_S2_
                                        ; -- End function
	.set _ZN9rocsparseL32csrcolor_assign_uncolored_kernelILi16ELi32EiEEvT1_S1_S1_S1_PS1_S2_.num_vgpr, 9
	.set _ZN9rocsparseL32csrcolor_assign_uncolored_kernelILi16ELi32EiEEvT1_S1_S1_S1_PS1_S2_.num_agpr, 0
	.set _ZN9rocsparseL32csrcolor_assign_uncolored_kernelILi16ELi32EiEEvT1_S1_S1_S1_PS1_S2_.numbered_sgpr, 12
	.set _ZN9rocsparseL32csrcolor_assign_uncolored_kernelILi16ELi32EiEEvT1_S1_S1_S1_PS1_S2_.num_named_barrier, 0
	.set _ZN9rocsparseL32csrcolor_assign_uncolored_kernelILi16ELi32EiEEvT1_S1_S1_S1_PS1_S2_.private_seg_size, 0
	.set _ZN9rocsparseL32csrcolor_assign_uncolored_kernelILi16ELi32EiEEvT1_S1_S1_S1_PS1_S2_.uses_vcc, 1
	.set _ZN9rocsparseL32csrcolor_assign_uncolored_kernelILi16ELi32EiEEvT1_S1_S1_S1_PS1_S2_.uses_flat_scratch, 0
	.set _ZN9rocsparseL32csrcolor_assign_uncolored_kernelILi16ELi32EiEEvT1_S1_S1_S1_PS1_S2_.has_dyn_sized_stack, 0
	.set _ZN9rocsparseL32csrcolor_assign_uncolored_kernelILi16ELi32EiEEvT1_S1_S1_S1_PS1_S2_.has_recursion, 0
	.set _ZN9rocsparseL32csrcolor_assign_uncolored_kernelILi16ELi32EiEEvT1_S1_S1_S1_PS1_S2_.has_indirect_call, 0
	.section	.AMDGPU.csdata,"",@progbits
; Kernel info:
; codeLenInByte = 384
; TotalNumSgprs: 14
; NumVgprs: 9
; ScratchSize: 0
; MemoryBound: 0
; FloatMode: 240
; IeeeMode: 1
; LDSByteSize: 0 bytes/workgroup (compile time only)
; SGPRBlocks: 0
; VGPRBlocks: 0
; NumSGPRsForWavesPerEU: 14
; NumVGPRsForWavesPerEU: 9
; NamedBarCnt: 0
; Occupancy: 16
; WaveLimiterHint : 0
; COMPUTE_PGM_RSRC2:SCRATCH_EN: 0
; COMPUTE_PGM_RSRC2:USER_SGPR: 2
; COMPUTE_PGM_RSRC2:TRAP_HANDLER: 0
; COMPUTE_PGM_RSRC2:TGID_X_EN: 1
; COMPUTE_PGM_RSRC2:TGID_Y_EN: 0
; COMPUTE_PGM_RSRC2:TGID_Z_EN: 0
; COMPUTE_PGM_RSRC2:TIDIG_COMP_CNT: 0
	.section	.text._ZN9rocsparseL32csrcolor_assign_uncolored_kernelILi16ELi64EiEEvT1_S1_S1_S1_PS1_S2_,"axG",@progbits,_ZN9rocsparseL32csrcolor_assign_uncolored_kernelILi16ELi64EiEEvT1_S1_S1_S1_PS1_S2_,comdat
	.globl	_ZN9rocsparseL32csrcolor_assign_uncolored_kernelILi16ELi64EiEEvT1_S1_S1_S1_PS1_S2_ ; -- Begin function _ZN9rocsparseL32csrcolor_assign_uncolored_kernelILi16ELi64EiEEvT1_S1_S1_S1_PS1_S2_
	.p2align	8
	.type	_ZN9rocsparseL32csrcolor_assign_uncolored_kernelILi16ELi64EiEEvT1_S1_S1_S1_PS1_S2_,@function
_ZN9rocsparseL32csrcolor_assign_uncolored_kernelILi16ELi64EiEEvT1_S1_S1_S1_PS1_S2_: ; @_ZN9rocsparseL32csrcolor_assign_uncolored_kernelILi16ELi64EiEEvT1_S1_S1_S1_PS1_S2_
; %bb.0:
	s_load_b128 s[4:7], s[0:1], 0x0
	s_bfe_u32 s2, ttmp6, 0x4000c
	s_and_b32 s3, ttmp6, 15
	s_add_co_i32 s2, s2, 1
	s_getreg_b32 s8, hwreg(HW_REG_IB_STS2, 6, 4)
	s_mul_i32 s2, ttmp9, s2
	v_dual_lshrrev_b32 v1, 6, v0 :: v_dual_bitop2_b32 v4, 63, v0 bitop3:0x40
	s_add_co_i32 s3, s3, s2
	s_cmp_eq_u32 s8, 0
	s_cselect_b32 s2, ttmp9, s3
	s_mov_b32 s3, 0
	v_lshl_or_b32 v1, s2, 4, v1
	s_wait_kmcnt 0x0
	s_delay_alu instid0(VALU_DEP_1) | instskip(SKIP_2) | instid1(SALU_CYCLE_1)
	v_cmp_gt_i32_e32 vcc_lo, s6, v1
	v_cmp_gt_i32_e64 s2, s5, v4
	s_and_b32 s2, vcc_lo, s2
	s_and_saveexec_b32 s6, s2
	s_cbranch_execz .LBB7_7
; %bb.1:
	s_load_b128 s[8:11], s[0:1], 0x10
	v_mul_lo_u32 v5, s5, v1
	v_xor_b32_e32 v0, 63, v4
	v_mov_b32_e32 v6, 0x7c
	s_delay_alu instid0(VALU_DEP_3) | instskip(NEXT) | instid1(VALU_DEP_1)
	v_add_nc_u32_e32 v2, v5, v4
	v_ashrrev_i32_e32 v3, 31, v2
	s_wait_kmcnt 0x0
	global_load_b32 v7, v1, s[10:11] scale_offset
	s_wait_xcnt 0x0
	v_lshrrev_b64 v[0:1], v0, -1
	v_lshl_add_u64 v[2:3], v[2:3], 2, s[8:9]
	s_wait_loadcnt 0x0
	v_add_nc_u32_e32 v1, s7, v7
	s_branch .LBB7_3
.LBB7_2:                                ;   in Loop: Header=BB7_3 Depth=1
	s_wait_xcnt 0x0
	s_or_b32 exec_lo, exec_lo, s1
	ds_bpermute_b32 v7, v6, v7
	v_add_nc_u32_e32 v4, 64, v4
	v_add_nc_u64_e32 v[2:3], 0x100, v[2:3]
	s_wait_dscnt 0x0
	v_add_nc_u32_e32 v1, v7, v1
	s_delay_alu instid0(VALU_DEP_3) | instskip(SKIP_1) | instid1(SALU_CYCLE_1)
	v_cmp_le_i32_e32 vcc_lo, s5, v4
	s_or_b32 s3, vcc_lo, s3
	s_and_not1_b32 exec_lo, exec_lo, s3
	s_cbranch_execz .LBB7_7
.LBB7_3:                                ; =>This Inner Loop Header: Depth=1
	v_add_nc_u32_e32 v7, v5, v4
	s_mov_b32 s0, 0
	s_mov_b32 s1, exec_lo
	s_delay_alu instid0(VALU_DEP_1)
	v_cmpx_gt_i32_e64 s4, v7
	s_cbranch_execz .LBB7_5
; %bb.4:                                ;   in Loop: Header=BB7_3 Depth=1
	global_load_b32 v7, v[2:3], off
	s_wait_loadcnt 0x0
	v_cmp_eq_u32_e32 vcc_lo, -1, v7
	s_and_b32 s0, vcc_lo, exec_lo
.LBB7_5:                                ;   in Loop: Header=BB7_3 Depth=1
	s_wait_xcnt 0x0
	s_or_b32 exec_lo, exec_lo, s1
	v_cndmask_b32_e64 v7, 0, 1, s0
	s_barrier_signal -1
	s_barrier_wait -1
	s_delay_alu instid0(VALU_DEP_1) | instskip(SKIP_1) | instid1(VALU_DEP_1)
	v_cmp_ne_u32_e32 vcc_lo, 0, v7
	v_and_b32_e32 v7, vcc_lo, v0
	v_bcnt_u32_b32 v7, v7, 0
	s_and_saveexec_b32 s1, s0
	s_cbranch_execz .LBB7_2
; %bb.6:                                ;   in Loop: Header=BB7_3 Depth=1
	s_delay_alu instid0(VALU_DEP_1)
	v_add3_u32 v8, v1, v7, -1
	global_store_b32 v[2:3], v8, off
	s_branch .LBB7_2
.LBB7_7:
	s_endpgm
	.section	.rodata,"a",@progbits
	.p2align	6, 0x0
	.amdhsa_kernel _ZN9rocsparseL32csrcolor_assign_uncolored_kernelILi16ELi64EiEEvT1_S1_S1_S1_PS1_S2_
		.amdhsa_group_segment_fixed_size 0
		.amdhsa_private_segment_fixed_size 0
		.amdhsa_kernarg_size 32
		.amdhsa_user_sgpr_count 2
		.amdhsa_user_sgpr_dispatch_ptr 0
		.amdhsa_user_sgpr_queue_ptr 0
		.amdhsa_user_sgpr_kernarg_segment_ptr 1
		.amdhsa_user_sgpr_dispatch_id 0
		.amdhsa_user_sgpr_kernarg_preload_length 0
		.amdhsa_user_sgpr_kernarg_preload_offset 0
		.amdhsa_user_sgpr_private_segment_size 0
		.amdhsa_wavefront_size32 1
		.amdhsa_uses_dynamic_stack 0
		.amdhsa_enable_private_segment 0
		.amdhsa_system_sgpr_workgroup_id_x 1
		.amdhsa_system_sgpr_workgroup_id_y 0
		.amdhsa_system_sgpr_workgroup_id_z 0
		.amdhsa_system_sgpr_workgroup_info 0
		.amdhsa_system_vgpr_workitem_id 0
		.amdhsa_next_free_vgpr 9
		.amdhsa_next_free_sgpr 12
		.amdhsa_named_barrier_count 0
		.amdhsa_reserve_vcc 1
		.amdhsa_float_round_mode_32 0
		.amdhsa_float_round_mode_16_64 0
		.amdhsa_float_denorm_mode_32 3
		.amdhsa_float_denorm_mode_16_64 3
		.amdhsa_fp16_overflow 0
		.amdhsa_memory_ordered 1
		.amdhsa_forward_progress 1
		.amdhsa_inst_pref_size 3
		.amdhsa_round_robin_scheduling 0
		.amdhsa_exception_fp_ieee_invalid_op 0
		.amdhsa_exception_fp_denorm_src 0
		.amdhsa_exception_fp_ieee_div_zero 0
		.amdhsa_exception_fp_ieee_overflow 0
		.amdhsa_exception_fp_ieee_underflow 0
		.amdhsa_exception_fp_ieee_inexact 0
		.amdhsa_exception_int_div_zero 0
	.end_amdhsa_kernel
	.section	.text._ZN9rocsparseL32csrcolor_assign_uncolored_kernelILi16ELi64EiEEvT1_S1_S1_S1_PS1_S2_,"axG",@progbits,_ZN9rocsparseL32csrcolor_assign_uncolored_kernelILi16ELi64EiEEvT1_S1_S1_S1_PS1_S2_,comdat
.Lfunc_end7:
	.size	_ZN9rocsparseL32csrcolor_assign_uncolored_kernelILi16ELi64EiEEvT1_S1_S1_S1_PS1_S2_, .Lfunc_end7-_ZN9rocsparseL32csrcolor_assign_uncolored_kernelILi16ELi64EiEEvT1_S1_S1_S1_PS1_S2_
                                        ; -- End function
	.set _ZN9rocsparseL32csrcolor_assign_uncolored_kernelILi16ELi64EiEEvT1_S1_S1_S1_PS1_S2_.num_vgpr, 9
	.set _ZN9rocsparseL32csrcolor_assign_uncolored_kernelILi16ELi64EiEEvT1_S1_S1_S1_PS1_S2_.num_agpr, 0
	.set _ZN9rocsparseL32csrcolor_assign_uncolored_kernelILi16ELi64EiEEvT1_S1_S1_S1_PS1_S2_.numbered_sgpr, 12
	.set _ZN9rocsparseL32csrcolor_assign_uncolored_kernelILi16ELi64EiEEvT1_S1_S1_S1_PS1_S2_.num_named_barrier, 0
	.set _ZN9rocsparseL32csrcolor_assign_uncolored_kernelILi16ELi64EiEEvT1_S1_S1_S1_PS1_S2_.private_seg_size, 0
	.set _ZN9rocsparseL32csrcolor_assign_uncolored_kernelILi16ELi64EiEEvT1_S1_S1_S1_PS1_S2_.uses_vcc, 1
	.set _ZN9rocsparseL32csrcolor_assign_uncolored_kernelILi16ELi64EiEEvT1_S1_S1_S1_PS1_S2_.uses_flat_scratch, 0
	.set _ZN9rocsparseL32csrcolor_assign_uncolored_kernelILi16ELi64EiEEvT1_S1_S1_S1_PS1_S2_.has_dyn_sized_stack, 0
	.set _ZN9rocsparseL32csrcolor_assign_uncolored_kernelILi16ELi64EiEEvT1_S1_S1_S1_PS1_S2_.has_recursion, 0
	.set _ZN9rocsparseL32csrcolor_assign_uncolored_kernelILi16ELi64EiEEvT1_S1_S1_S1_PS1_S2_.has_indirect_call, 0
	.section	.AMDGPU.csdata,"",@progbits
; Kernel info:
; codeLenInByte = 380
; TotalNumSgprs: 14
; NumVgprs: 9
; ScratchSize: 0
; MemoryBound: 0
; FloatMode: 240
; IeeeMode: 1
; LDSByteSize: 0 bytes/workgroup (compile time only)
; SGPRBlocks: 0
; VGPRBlocks: 0
; NumSGPRsForWavesPerEU: 14
; NumVGPRsForWavesPerEU: 9
; NamedBarCnt: 0
; Occupancy: 16
; WaveLimiterHint : 0
; COMPUTE_PGM_RSRC2:SCRATCH_EN: 0
; COMPUTE_PGM_RSRC2:USER_SGPR: 2
; COMPUTE_PGM_RSRC2:TRAP_HANDLER: 0
; COMPUTE_PGM_RSRC2:TGID_X_EN: 1
; COMPUTE_PGM_RSRC2:TGID_Y_EN: 0
; COMPUTE_PGM_RSRC2:TGID_Z_EN: 0
; COMPUTE_PGM_RSRC2:TIDIG_COMP_CNT: 0
	.section	.text._ZN9rocsparseL28csrcolor_reordering_identityILi1024EiEEvT0_PS1_,"axG",@progbits,_ZN9rocsparseL28csrcolor_reordering_identityILi1024EiEEvT0_PS1_,comdat
	.globl	_ZN9rocsparseL28csrcolor_reordering_identityILi1024EiEEvT0_PS1_ ; -- Begin function _ZN9rocsparseL28csrcolor_reordering_identityILi1024EiEEvT0_PS1_
	.p2align	8
	.type	_ZN9rocsparseL28csrcolor_reordering_identityILi1024EiEEvT0_PS1_,@function
_ZN9rocsparseL28csrcolor_reordering_identityILi1024EiEEvT0_PS1_: ; @_ZN9rocsparseL28csrcolor_reordering_identityILi1024EiEEvT0_PS1_
; %bb.0:
	s_load_b32 s2, s[0:1], 0x0
	s_bfe_u32 s3, ttmp6, 0x4000c
	s_and_b32 s4, ttmp6, 15
	s_add_co_i32 s3, s3, 1
	s_getreg_b32 s5, hwreg(HW_REG_IB_STS2, 6, 4)
	s_mul_i32 s3, ttmp9, s3
	s_delay_alu instid0(SALU_CYCLE_1) | instskip(SKIP_2) | instid1(SALU_CYCLE_1)
	s_add_co_i32 s4, s4, s3
	s_cmp_eq_u32 s5, 0
	s_cselect_b32 s3, ttmp9, s4
	v_lshl_or_b32 v0, s3, 10, v0
	s_wait_kmcnt 0x0
	s_delay_alu instid0(VALU_DEP_1)
	v_cmp_gt_i32_e32 vcc_lo, s2, v0
	s_and_saveexec_b32 s2, vcc_lo
	s_cbranch_execz .LBB8_2
; %bb.1:
	s_load_b64 s[0:1], s[0:1], 0x8
	s_wait_kmcnt 0x0
	global_store_b32 v0, v0, s[0:1] scale_offset
.LBB8_2:
	s_endpgm
	.section	.rodata,"a",@progbits
	.p2align	6, 0x0
	.amdhsa_kernel _ZN9rocsparseL28csrcolor_reordering_identityILi1024EiEEvT0_PS1_
		.amdhsa_group_segment_fixed_size 0
		.amdhsa_private_segment_fixed_size 0
		.amdhsa_kernarg_size 16
		.amdhsa_user_sgpr_count 2
		.amdhsa_user_sgpr_dispatch_ptr 0
		.amdhsa_user_sgpr_queue_ptr 0
		.amdhsa_user_sgpr_kernarg_segment_ptr 1
		.amdhsa_user_sgpr_dispatch_id 0
		.amdhsa_user_sgpr_kernarg_preload_length 0
		.amdhsa_user_sgpr_kernarg_preload_offset 0
		.amdhsa_user_sgpr_private_segment_size 0
		.amdhsa_wavefront_size32 1
		.amdhsa_uses_dynamic_stack 0
		.amdhsa_enable_private_segment 0
		.amdhsa_system_sgpr_workgroup_id_x 1
		.amdhsa_system_sgpr_workgroup_id_y 0
		.amdhsa_system_sgpr_workgroup_id_z 0
		.amdhsa_system_sgpr_workgroup_info 0
		.amdhsa_system_vgpr_workitem_id 0
		.amdhsa_next_free_vgpr 1
		.amdhsa_next_free_sgpr 6
		.amdhsa_named_barrier_count 0
		.amdhsa_reserve_vcc 1
		.amdhsa_float_round_mode_32 0
		.amdhsa_float_round_mode_16_64 0
		.amdhsa_float_denorm_mode_32 3
		.amdhsa_float_denorm_mode_16_64 3
		.amdhsa_fp16_overflow 0
		.amdhsa_memory_ordered 1
		.amdhsa_forward_progress 1
		.amdhsa_inst_pref_size 1
		.amdhsa_round_robin_scheduling 0
		.amdhsa_exception_fp_ieee_invalid_op 0
		.amdhsa_exception_fp_denorm_src 0
		.amdhsa_exception_fp_ieee_div_zero 0
		.amdhsa_exception_fp_ieee_overflow 0
		.amdhsa_exception_fp_ieee_underflow 0
		.amdhsa_exception_fp_ieee_inexact 0
		.amdhsa_exception_int_div_zero 0
	.end_amdhsa_kernel
	.section	.text._ZN9rocsparseL28csrcolor_reordering_identityILi1024EiEEvT0_PS1_,"axG",@progbits,_ZN9rocsparseL28csrcolor_reordering_identityILi1024EiEEvT0_PS1_,comdat
.Lfunc_end8:
	.size	_ZN9rocsparseL28csrcolor_reordering_identityILi1024EiEEvT0_PS1_, .Lfunc_end8-_ZN9rocsparseL28csrcolor_reordering_identityILi1024EiEEvT0_PS1_
                                        ; -- End function
	.set _ZN9rocsparseL28csrcolor_reordering_identityILi1024EiEEvT0_PS1_.num_vgpr, 1
	.set _ZN9rocsparseL28csrcolor_reordering_identityILi1024EiEEvT0_PS1_.num_agpr, 0
	.set _ZN9rocsparseL28csrcolor_reordering_identityILi1024EiEEvT0_PS1_.numbered_sgpr, 6
	.set _ZN9rocsparseL28csrcolor_reordering_identityILi1024EiEEvT0_PS1_.num_named_barrier, 0
	.set _ZN9rocsparseL28csrcolor_reordering_identityILi1024EiEEvT0_PS1_.private_seg_size, 0
	.set _ZN9rocsparseL28csrcolor_reordering_identityILi1024EiEEvT0_PS1_.uses_vcc, 1
	.set _ZN9rocsparseL28csrcolor_reordering_identityILi1024EiEEvT0_PS1_.uses_flat_scratch, 0
	.set _ZN9rocsparseL28csrcolor_reordering_identityILi1024EiEEvT0_PS1_.has_dyn_sized_stack, 0
	.set _ZN9rocsparseL28csrcolor_reordering_identityILi1024EiEEvT0_PS1_.has_recursion, 0
	.set _ZN9rocsparseL28csrcolor_reordering_identityILi1024EiEEvT0_PS1_.has_indirect_call, 0
	.section	.AMDGPU.csdata,"",@progbits
; Kernel info:
; codeLenInByte = 104
; TotalNumSgprs: 8
; NumVgprs: 1
; ScratchSize: 0
; MemoryBound: 0
; FloatMode: 240
; IeeeMode: 1
; LDSByteSize: 0 bytes/workgroup (compile time only)
; SGPRBlocks: 0
; VGPRBlocks: 0
; NumSGPRsForWavesPerEU: 8
; NumVGPRsForWavesPerEU: 1
; NamedBarCnt: 0
; Occupancy: 16
; WaveLimiterHint : 0
; COMPUTE_PGM_RSRC2:SCRATCH_EN: 0
; COMPUTE_PGM_RSRC2:USER_SGPR: 2
; COMPUTE_PGM_RSRC2:TRAP_HANDLER: 0
; COMPUTE_PGM_RSRC2:TGID_X_EN: 1
; COMPUTE_PGM_RSRC2:TGID_Y_EN: 0
; COMPUTE_PGM_RSRC2:TGID_Z_EN: 0
; COMPUTE_PGM_RSRC2:TIDIG_COMP_CNT: 0
	.section	.AMDGPU.gpr_maximums,"",@progbits
	.set amdgpu.max_num_vgpr, 0
	.set amdgpu.max_num_agpr, 0
	.set amdgpu.max_num_sgpr, 0
	.section	.AMDGPU.csdata,"",@progbits
	.type	__hip_cuid_6530104717b102c4,@object ; @__hip_cuid_6530104717b102c4
	.section	.bss,"aw",@nobits
	.globl	__hip_cuid_6530104717b102c4
__hip_cuid_6530104717b102c4:
	.byte	0                               ; 0x0
	.size	__hip_cuid_6530104717b102c4, 1

	.ident	"AMD clang version 22.0.0git (https://github.com/RadeonOpenCompute/llvm-project roc-7.2.4 26084 f58b06dce1f9c15707c5f808fd002e18c2accf7e)"
	.section	".note.GNU-stack","",@progbits
	.addrsig
	.addrsig_sym __hip_cuid_6530104717b102c4
	.amdgpu_metadata
---
amdhsa.kernels:
  - .args:
      - .offset:         0
        .size:           4
        .value_kind:     by_value
      - .offset:         4
        .size:           4
        .value_kind:     by_value
      - .actual_access:  read_only
        .address_space:  global
        .offset:         8
        .size:           8
        .value_kind:     global_buffer
      - .actual_access:  read_only
        .address_space:  global
        .offset:         16
        .size:           8
        .value_kind:     global_buffer
      - .offset:         24
        .size:           4
        .value_kind:     by_value
      - .address_space:  global
        .offset:         32
        .size:           8
        .value_kind:     global_buffer
      - .offset:         40
        .size:           4
        .value_kind:     hidden_block_count_x
      - .offset:         44
        .size:           4
        .value_kind:     hidden_block_count_y
      - .offset:         48
        .size:           4
        .value_kind:     hidden_block_count_z
      - .offset:         52
        .size:           2
        .value_kind:     hidden_group_size_x
      - .offset:         54
        .size:           2
        .value_kind:     hidden_group_size_y
      - .offset:         56
        .size:           2
        .value_kind:     hidden_group_size_z
      - .offset:         58
        .size:           2
        .value_kind:     hidden_remainder_x
      - .offset:         60
        .size:           2
        .value_kind:     hidden_remainder_y
      - .offset:         62
        .size:           2
        .value_kind:     hidden_remainder_z
      - .offset:         80
        .size:           8
        .value_kind:     hidden_global_offset_x
      - .offset:         88
        .size:           8
        .value_kind:     hidden_global_offset_y
      - .offset:         96
        .size:           8
        .value_kind:     hidden_global_offset_z
      - .offset:         104
        .size:           2
        .value_kind:     hidden_grid_dims
    .group_segment_fixed_size: 0
    .kernarg_segment_align: 8
    .kernarg_segment_size: 296
    .language:       OpenCL C
    .language_version:
      - 2
      - 0
    .max_flat_workgroup_size: 256
    .name:           _ZN9rocsparseL19csrcolor_kernel_jplILj256EiiEEvT1_S1_PKT0_PKS1_21rocsparse_index_base_PS1_
    .private_segment_fixed_size: 0
    .sgpr_count:     20
    .sgpr_spill_count: 0
    .symbol:         _ZN9rocsparseL19csrcolor_kernel_jplILj256EiiEEvT1_S1_PKT0_PKS1_21rocsparse_index_base_PS1_.kd
    .uniform_work_group_size: 1
    .uses_dynamic_stack: false
    .vgpr_count:     9
    .vgpr_spill_count: 0
    .wavefront_size: 32
  - .args:
      - .offset:         0
        .size:           4
        .value_kind:     by_value
      - .actual_access:  read_only
        .address_space:  global
        .offset:         8
        .size:           8
        .value_kind:     global_buffer
      - .actual_access:  write_only
        .address_space:  global
        .offset:         16
        .size:           8
        .value_kind:     global_buffer
      - .offset:         24
        .size:           4
        .value_kind:     hidden_block_count_x
      - .offset:         28
        .size:           4
        .value_kind:     hidden_block_count_y
      - .offset:         32
        .size:           4
        .value_kind:     hidden_block_count_z
      - .offset:         36
        .size:           2
        .value_kind:     hidden_group_size_x
      - .offset:         38
        .size:           2
        .value_kind:     hidden_group_size_y
      - .offset:         40
        .size:           2
        .value_kind:     hidden_group_size_z
      - .offset:         42
        .size:           2
        .value_kind:     hidden_remainder_x
      - .offset:         44
        .size:           2
        .value_kind:     hidden_remainder_y
      - .offset:         46
        .size:           2
        .value_kind:     hidden_remainder_z
      - .offset:         64
        .size:           8
        .value_kind:     hidden_global_offset_x
      - .offset:         72
        .size:           8
        .value_kind:     hidden_global_offset_y
      - .offset:         80
        .size:           8
        .value_kind:     hidden_global_offset_z
      - .offset:         88
        .size:           2
        .value_kind:     hidden_grid_dims
    .group_segment_fixed_size: 1024
    .kernarg_segment_align: 8
    .kernarg_segment_size: 280
    .language:       OpenCL C
    .language_version:
      - 2
      - 0
    .max_flat_workgroup_size: 256
    .name:           _ZN9rocsparseL31csrcolor_kernel_count_uncoloredILj256EiEEvT0_PKS1_PS1_
    .private_segment_fixed_size: 0
    .sgpr_count:     15
    .sgpr_spill_count: 0
    .symbol:         _ZN9rocsparseL31csrcolor_kernel_count_uncoloredILj256EiEEvT0_PKS1_PS1_.kd
    .uniform_work_group_size: 1
    .uses_dynamic_stack: false
    .vgpr_count:     11
    .vgpr_spill_count: 0
    .wavefront_size: 32
  - .args:
      - .address_space:  global
        .offset:         0
        .size:           8
        .value_kind:     global_buffer
    .group_segment_fixed_size: 1024
    .kernarg_segment_align: 8
    .kernarg_segment_size: 8
    .language:       OpenCL C
    .language_version:
      - 2
      - 0
    .max_flat_workgroup_size: 256
    .name:           _ZN9rocsparseL40csrcolor_kernel_count_uncolored_finalizeILj256EiEEvPT0_
    .private_segment_fixed_size: 0
    .sgpr_count:     5
    .sgpr_spill_count: 0
    .symbol:         _ZN9rocsparseL40csrcolor_kernel_count_uncolored_finalizeILj256EiEEvPT0_.kd
    .uniform_work_group_size: 1
    .uses_dynamic_stack: false
    .vgpr_count:     4
    .vgpr_spill_count: 0
    .wavefront_size: 32
  - .args:
      - .offset:         0
        .size:           4
        .value_kind:     by_value
      - .actual_access:  read_only
        .address_space:  global
        .offset:         8
        .size:           8
        .value_kind:     global_buffer
      - .actual_access:  write_only
        .address_space:  global
        .offset:         16
        .size:           8
        .value_kind:     global_buffer
      - .offset:         24
        .size:           4
        .value_kind:     hidden_block_count_x
      - .offset:         28
        .size:           4
        .value_kind:     hidden_block_count_y
      - .offset:         32
        .size:           4
        .value_kind:     hidden_block_count_z
      - .offset:         36
        .size:           2
        .value_kind:     hidden_group_size_x
      - .offset:         38
        .size:           2
        .value_kind:     hidden_group_size_y
      - .offset:         40
        .size:           2
        .value_kind:     hidden_group_size_z
      - .offset:         42
        .size:           2
        .value_kind:     hidden_remainder_x
      - .offset:         44
        .size:           2
        .value_kind:     hidden_remainder_y
      - .offset:         46
        .size:           2
        .value_kind:     hidden_remainder_z
      - .offset:         64
        .size:           8
        .value_kind:     hidden_global_offset_x
      - .offset:         72
        .size:           8
        .value_kind:     hidden_global_offset_y
      - .offset:         80
        .size:           8
        .value_kind:     hidden_global_offset_z
      - .offset:         88
        .size:           2
        .value_kind:     hidden_grid_dims
    .group_segment_fixed_size: 1024
    .kernarg_segment_align: 8
    .kernarg_segment_size: 280
    .language:       OpenCL C
    .language_version:
      - 2
      - 0
    .max_flat_workgroup_size: 256
    .name:           _ZN9rocsparseL28csrcolor_kernel_count_colorsILj256EiEEvT0_PKS1_PS1_
    .private_segment_fixed_size: 0
    .sgpr_count:     14
    .sgpr_spill_count: 0
    .symbol:         _ZN9rocsparseL28csrcolor_kernel_count_colorsILj256EiEEvT0_PKS1_PS1_.kd
    .uniform_work_group_size: 1
    .uses_dynamic_stack: false
    .vgpr_count:     11
    .vgpr_spill_count: 0
    .wavefront_size: 32
  - .args:
      - .address_space:  global
        .offset:         0
        .size:           8
        .value_kind:     global_buffer
    .group_segment_fixed_size: 1024
    .kernarg_segment_align: 8
    .kernarg_segment_size: 8
    .language:       OpenCL C
    .language_version:
      - 2
      - 0
    .max_flat_workgroup_size: 256
    .name:           _ZN9rocsparseL37csrcolor_kernel_count_colors_finalizeILj256EiEEvPT0_
    .private_segment_fixed_size: 0
    .sgpr_count:     5
    .sgpr_spill_count: 0
    .symbol:         _ZN9rocsparseL37csrcolor_kernel_count_colors_finalizeILj256EiEEvPT0_.kd
    .uniform_work_group_size: 1
    .uses_dynamic_stack: false
    .vgpr_count:     4
    .vgpr_spill_count: 0
    .wavefront_size: 32
  - .args:
      - .offset:         0
        .size:           4
        .value_kind:     by_value
      - .offset:         4
        .size:           4
        .value_kind:     by_value
      - .offset:         8
        .size:           4
        .value_kind:     by_value
      - .actual_access:  read_only
        .address_space:  global
        .offset:         16
        .size:           8
        .value_kind:     global_buffer
      - .actual_access:  write_only
        .address_space:  global
        .offset:         24
        .size:           8
        .value_kind:     global_buffer
    .group_segment_fixed_size: 1024
    .kernarg_segment_align: 8
    .kernarg_segment_size: 32
    .language:       OpenCL C
    .language_version:
      - 2
      - 0
    .max_flat_workgroup_size: 256
    .name:           _ZN9rocsparseL15count_uncoloredILi256EiEEvT0_S1_S1_PKS1_PS1_
    .private_segment_fixed_size: 0
    .sgpr_count:     17
    .sgpr_spill_count: 0
    .symbol:         _ZN9rocsparseL15count_uncoloredILi256EiEEvT0_S1_S1_PKS1_PS1_.kd
    .uniform_work_group_size: 1
    .uses_dynamic_stack: false
    .vgpr_count:     33
    .vgpr_spill_count: 0
    .wavefront_size: 32
  - .args:
      - .offset:         0
        .size:           4
        .value_kind:     by_value
      - .offset:         4
        .size:           4
        .value_kind:     by_value
      - .offset:         8
        .size:           4
        .value_kind:     by_value
      - .offset:         12
        .size:           4
        .value_kind:     by_value
      - .address_space:  global
        .offset:         16
        .size:           8
        .value_kind:     global_buffer
      - .actual_access:  read_only
        .address_space:  global
        .offset:         24
        .size:           8
        .value_kind:     global_buffer
    .group_segment_fixed_size: 0
    .kernarg_segment_align: 8
    .kernarg_segment_size: 32
    .language:       OpenCL C
    .language_version:
      - 2
      - 0
    .max_flat_workgroup_size: 512
    .name:           _ZN9rocsparseL32csrcolor_assign_uncolored_kernelILi16ELi32EiEEvT1_S1_S1_S1_PS1_S2_
    .private_segment_fixed_size: 0
    .sgpr_count:     14
    .sgpr_spill_count: 0
    .symbol:         _ZN9rocsparseL32csrcolor_assign_uncolored_kernelILi16ELi32EiEEvT1_S1_S1_S1_PS1_S2_.kd
    .uniform_work_group_size: 1
    .uses_dynamic_stack: false
    .vgpr_count:     9
    .vgpr_spill_count: 0
    .wavefront_size: 32
  - .args:
      - .offset:         0
        .size:           4
        .value_kind:     by_value
      - .offset:         4
        .size:           4
        .value_kind:     by_value
      - .offset:         8
        .size:           4
        .value_kind:     by_value
      - .offset:         12
        .size:           4
        .value_kind:     by_value
      - .address_space:  global
        .offset:         16
        .size:           8
        .value_kind:     global_buffer
      - .actual_access:  read_only
        .address_space:  global
        .offset:         24
        .size:           8
        .value_kind:     global_buffer
    .group_segment_fixed_size: 0
    .kernarg_segment_align: 8
    .kernarg_segment_size: 32
    .language:       OpenCL C
    .language_version:
      - 2
      - 0
    .max_flat_workgroup_size: 1024
    .name:           _ZN9rocsparseL32csrcolor_assign_uncolored_kernelILi16ELi64EiEEvT1_S1_S1_S1_PS1_S2_
    .private_segment_fixed_size: 0
    .sgpr_count:     14
    .sgpr_spill_count: 0
    .symbol:         _ZN9rocsparseL32csrcolor_assign_uncolored_kernelILi16ELi64EiEEvT1_S1_S1_S1_PS1_S2_.kd
    .uniform_work_group_size: 1
    .uses_dynamic_stack: false
    .vgpr_count:     9
    .vgpr_spill_count: 0
    .wavefront_size: 32
  - .args:
      - .offset:         0
        .size:           4
        .value_kind:     by_value
      - .address_space:  global
        .offset:         8
        .size:           8
        .value_kind:     global_buffer
    .group_segment_fixed_size: 0
    .kernarg_segment_align: 8
    .kernarg_segment_size: 16
    .language:       OpenCL C
    .language_version:
      - 2
      - 0
    .max_flat_workgroup_size: 1024
    .name:           _ZN9rocsparseL28csrcolor_reordering_identityILi1024EiEEvT0_PS1_
    .private_segment_fixed_size: 0
    .sgpr_count:     8
    .sgpr_spill_count: 0
    .symbol:         _ZN9rocsparseL28csrcolor_reordering_identityILi1024EiEEvT0_PS1_.kd
    .uniform_work_group_size: 1
    .uses_dynamic_stack: false
    .vgpr_count:     1
    .vgpr_spill_count: 0
    .wavefront_size: 32
amdhsa.target:   amdgcn-amd-amdhsa--gfx1250
amdhsa.version:
  - 1
  - 2
...

	.end_amdgpu_metadata
